;; amdgpu-corpus repo=ROCm/rocFFT kind=compiled arch=gfx1201 opt=O3
	.text
	.amdgcn_target "amdgcn-amd-amdhsa--gfx1201"
	.amdhsa_code_object_version 6
	.protected	bluestein_single_fwd_len1456_dim1_sp_op_CI_CI ; -- Begin function bluestein_single_fwd_len1456_dim1_sp_op_CI_CI
	.globl	bluestein_single_fwd_len1456_dim1_sp_op_CI_CI
	.p2align	8
	.type	bluestein_single_fwd_len1456_dim1_sp_op_CI_CI,@function
bluestein_single_fwd_len1456_dim1_sp_op_CI_CI: ; @bluestein_single_fwd_len1456_dim1_sp_op_CI_CI
; %bb.0:
	s_load_b128 s[8:11], s[0:1], 0x28
	v_mul_u32_u24_e32 v1, 0x169, v0
	s_mov_b32 s2, exec_lo
	v_mov_b32_e32 v59, 0
	s_delay_alu instid0(VALU_DEP_2) | instskip(NEXT) | instid1(VALU_DEP_1)
	v_lshrrev_b32_e32 v1, 16, v1
	v_add_nc_u32_e32 v58, ttmp9, v1
	s_wait_kmcnt 0x0
	s_delay_alu instid0(VALU_DEP_1)
	v_cmpx_gt_u64_e64 s[8:9], v[58:59]
	s_cbranch_execz .LBB0_23
; %bb.1:
	v_mul_lo_u16 v1, 0xb6, v1
	s_clause 0x1
	s_load_b64 s[12:13], s[0:1], 0x0
	s_load_b64 s[8:9], s[0:1], 0x38
	s_delay_alu instid0(VALU_DEP_1) | instskip(NEXT) | instid1(VALU_DEP_1)
	v_sub_nc_u16 v0, v0, v1
	v_and_b32_e32 v89, 0xffff, v0
	v_cmp_gt_u16_e32 vcc_lo, 0x70, v0
	s_delay_alu instid0(VALU_DEP_2)
	v_lshlrev_b32_e32 v88, 3, v89
	v_or_b32_e32 v87, 0x380, v89
	s_and_saveexec_b32 s3, vcc_lo
	s_cbranch_execz .LBB0_3
; %bb.2:
	s_load_b64 s[4:5], s[0:1], 0x18
	v_add_nc_u32_e32 v56, 0xc00, v88
	s_wait_kmcnt 0x0
	s_load_b128 s[4:7], s[4:5], 0x0
	s_clause 0x1
	global_load_b64 v[11:12], v88, s[12:13]
	global_load_b64 v[13:14], v88, s[12:13] offset:896
	s_wait_kmcnt 0x0
	v_mad_co_u64_u32 v[0:1], null, s6, v58, 0
	v_mad_co_u64_u32 v[2:3], null, s4, v89, 0
	s_delay_alu instid0(VALU_DEP_1) | instskip(SKIP_1) | instid1(VALU_DEP_1)
	v_mad_co_u64_u32 v[4:5], null, s7, v58, v[1:2]
	s_mul_u64 s[6:7], s[4:5], 0x380
	v_mad_co_u64_u32 v[5:6], null, s5, v89, v[3:4]
	v_mov_b32_e32 v1, v4
	s_delay_alu instid0(VALU_DEP_1) | instskip(NEXT) | instid1(VALU_DEP_3)
	v_lshlrev_b64_e32 v[0:1], 3, v[0:1]
	v_mov_b32_e32 v3, v5
	s_delay_alu instid0(VALU_DEP_1) | instskip(NEXT) | instid1(VALU_DEP_3)
	v_lshlrev_b64_e32 v[2:3], 3, v[2:3]
	v_add_co_u32 v21, s2, s10, v0
	s_delay_alu instid0(VALU_DEP_1) | instskip(SKIP_1) | instid1(VALU_DEP_3)
	v_add_co_ci_u32_e64 v22, s2, s11, v1, s2
	v_mad_co_u64_u32 v[0:1], null, s4, v87, 0
	v_add_co_u32 v2, s2, v21, v2
	s_wait_alu 0xf1ff
	s_delay_alu instid0(VALU_DEP_3) | instskip(SKIP_1) | instid1(VALU_DEP_2)
	v_add_co_ci_u32_e64 v3, s2, v22, v3, s2
	s_wait_alu 0xfffe
	v_add_co_u32 v4, s2, v2, s6
	s_wait_alu 0xf1ff
	s_delay_alu instid0(VALU_DEP_2) | instskip(SKIP_1) | instid1(VALU_DEP_3)
	v_add_co_ci_u32_e64 v5, s2, s7, v3, s2
	v_mad_co_u64_u32 v[8:9], null, s5, v87, v[1:2]
	v_add_co_u32 v6, s2, v4, s6
	s_wait_alu 0xf1ff
	s_delay_alu instid0(VALU_DEP_3) | instskip(NEXT) | instid1(VALU_DEP_2)
	v_add_co_ci_u32_e64 v7, s2, s7, v5, s2
	v_add_co_u32 v9, s2, v6, s6
	s_wait_alu 0xf1ff
	s_delay_alu instid0(VALU_DEP_2) | instskip(SKIP_1) | instid1(VALU_DEP_3)
	v_add_co_ci_u32_e64 v10, s2, s7, v7, s2
	v_mov_b32_e32 v1, v8
	v_add_co_u32 v15, s2, v9, s6
	s_wait_alu 0xf1ff
	s_delay_alu instid0(VALU_DEP_3) | instskip(NEXT) | instid1(VALU_DEP_3)
	v_add_co_ci_u32_e64 v16, s2, s7, v10, s2
	v_lshlrev_b64_e32 v[0:1], 3, v[0:1]
	s_delay_alu instid0(VALU_DEP_3) | instskip(SKIP_1) | instid1(VALU_DEP_3)
	v_add_co_u32 v17, s2, v15, s6
	s_wait_alu 0xf1ff
	v_add_co_ci_u32_e64 v18, s2, s7, v16, s2
	s_delay_alu instid0(VALU_DEP_2) | instskip(SKIP_1) | instid1(VALU_DEP_2)
	v_add_co_u32 v19, s2, v17, s6
	s_wait_alu 0xf1ff
	v_add_co_ci_u32_e64 v20, s2, s7, v18, s2
	v_add_co_u32 v0, s2, v21, v0
	s_wait_alu 0xf1ff
	v_add_co_ci_u32_e64 v1, s2, v22, v1, s2
	;; [unrolled: 3-line block ×3, first 2 shown]
	global_load_b64 v[2:3], v[2:3], off
	global_load_b64 v[23:24], v88, s[12:13] offset:7168
	s_clause 0x2
	global_load_b64 v[0:1], v[0:1], off
	global_load_b64 v[4:5], v[4:5], off
	global_load_b64 v[6:7], v[6:7], off
	s_clause 0x1
	global_load_b64 v[27:28], v88, s[12:13] offset:1792
	global_load_b64 v[29:30], v88, s[12:13] offset:2688
	s_clause 0x1
	global_load_b64 v[8:9], v[9:10], off
	global_load_b64 v[15:16], v[15:16], off
	v_mad_co_u64_u32 v[25:26], null, 0x700, s4, v[21:22]
	v_add_nc_u32_e32 v60, 0x2000, v88
	s_delay_alu instid0(VALU_DEP_2) | instskip(NEXT) | instid1(VALU_DEP_3)
	v_mov_b32_e32 v10, v26
	v_add_co_u32 v44, s2, v25, s6
	s_wait_loadcnt 0xa
	s_delay_alu instid0(VALU_DEP_2)
	v_mad_co_u64_u32 v[31:32], null, 0x700, s5, v[10:11]
	s_clause 0x5
	global_load_b64 v[32:33], v88, s[12:13] offset:3584
	global_load_b64 v[34:35], v88, s[12:13] offset:4480
	;; [unrolled: 1-line block ×6, first 2 shown]
	global_load_b64 v[17:18], v[17:18], off
	global_load_b64 v[19:20], v[19:20], off
	;; [unrolled: 1-line block ×3, first 2 shown]
	v_dual_mov_b32 v26, v31 :: v_dual_add_nc_u32 v31, 0x400, v88
	s_wait_alu 0xf1ff
	s_delay_alu instid0(VALU_DEP_1)
	v_add_co_ci_u32_e64 v45, s2, s7, v26, s2
	v_add_co_u32 v46, s2, v44, s6
	global_load_b64 v[25:26], v[25:26], off
	s_wait_alu 0xf1ff
	v_add_co_ci_u32_e64 v47, s2, s7, v45, s2
	global_load_b64 v[44:45], v[44:45], off
	v_add_co_u32 v48, s2, v46, s6
	s_wait_alu 0xf1ff
	v_add_co_ci_u32_e64 v49, s2, s7, v47, s2
	global_load_b64 v[50:51], v88, s[12:13] offset:9856
	global_load_b64 v[46:47], v[46:47], off
	global_load_b64 v[52:53], v88, s[12:13] offset:10752
	global_load_b64 v[48:49], v[48:49], off
	s_wait_loadcnt 0x17
	v_mul_f32_e32 v10, v3, v12
	s_wait_loadcnt 0x14
	v_dual_mul_f32 v54, v5, v14 :: v_dual_add_nc_u32 v57, 0x1400, v88
	v_mul_f32_e32 v55, v2, v12
	v_mul_f32_e32 v12, v1, v24
	;; [unrolled: 1-line block ×3, first 2 shown]
	v_fmac_f32_e32 v10, v2, v11
	v_fmac_f32_e32 v54, v4, v13
	v_fma_f32 v11, v3, v11, -v55
	s_wait_loadcnt 0x12
	v_dual_mul_f32 v3, v4, v14 :: v_dual_mul_f32 v2, v7, v28
	s_wait_loadcnt 0x10
	v_mul_f32_e32 v4, v9, v30
	v_mul_f32_e32 v14, v8, v30
	s_delay_alu instid0(VALU_DEP_3) | instskip(SKIP_1) | instid1(VALU_DEP_3)
	v_fma_f32 v55, v5, v13, -v3
	v_fma_f32 v13, v1, v23, -v24
	;; [unrolled: 1-line block ×3, first 2 shown]
	ds_store_2addr_b64 v88, v[10:11], v[54:55] offset1:112
	s_wait_loadcnt 0xe
	v_mul_f32_e32 v1, v15, v33
	v_dual_fmac_f32 v12, v0, v23 :: v_dual_add_nc_u32 v59, 0x1800, v88
	v_mul_f32_e32 v0, v6, v28
	s_delay_alu instid0(VALU_DEP_3) | instskip(SKIP_2) | instid1(VALU_DEP_3)
	v_fma_f32 v1, v16, v32, -v1
	s_wait_loadcnt 0x5
	v_mul_f32_e32 v9, v25, v41
	v_fma_f32 v3, v7, v27, -v0
	v_mul_f32_e32 v7, v21, v39
	v_fmac_f32_e32 v2, v6, v27
	s_wait_loadcnt 0x4
	v_mul_f32_e32 v11, v44, v43
	v_fmac_f32_e32 v4, v8, v29
	v_mul_f32_e32 v0, v16, v33
	v_mul_f32_e32 v6, v22, v39
	;; [unrolled: 1-line block ×4, first 2 shown]
	ds_store_2addr_b64 v31, v[2:3], v[4:5] offset0:96 offset1:208
	v_mul_f32_e32 v2, v18, v35
	v_dual_mul_f32 v3, v17, v35 :: v_dual_mul_f32 v4, v20, v37
	v_mul_f32_e32 v5, v19, v37
	v_fmac_f32_e32 v0, v15, v32
	s_wait_loadcnt 0x2
	v_mul_f32_e32 v14, v47, v51
	v_dual_mul_f32 v15, v46, v51 :: v_dual_fmac_f32 v2, v17, v34
	s_wait_loadcnt 0x0
	v_mul_f32_e32 v17, v48, v53
	v_mul_f32_e32 v16, v49, v53
	v_fma_f32 v3, v18, v34, -v3
	v_fmac_f32_e32 v4, v19, v36
	v_fma_f32 v5, v20, v36, -v5
	v_fmac_f32_e32 v6, v21, v38
	v_fma_f32 v7, v22, v38, -v7
	v_fmac_f32_e32 v8, v25, v40
	v_fma_f32 v9, v26, v40, -v9
	v_fmac_f32_e32 v10, v44, v42
	v_fma_f32 v11, v45, v42, -v11
	v_fmac_f32_e32 v14, v46, v50
	v_fma_f32 v15, v47, v50, -v15
	v_fmac_f32_e32 v16, v48, v52
	v_fma_f32 v17, v49, v52, -v17
	ds_store_2addr_b64 v56, v[0:1], v[2:3] offset0:64 offset1:176
	ds_store_2addr_b64 v57, v[4:5], v[6:7] offset0:32 offset1:144
	;; [unrolled: 1-line block ×4, first 2 shown]
	ds_store_b64 v88, v[16:17] offset:10752
.LBB0_3:
	s_or_b32 exec_lo, exec_lo, s3
	s_clause 0x1
	s_load_b64 s[4:5], s[0:1], 0x20
	s_load_b64 s[2:3], s[0:1], 0x8
	v_mov_b32_e32 v0, 0
	v_mov_b32_e32 v1, 0
	global_wb scope:SCOPE_SE
	s_wait_dscnt 0x0
	s_wait_kmcnt 0x0
	s_barrier_signal -1
	s_barrier_wait -1
	global_inv scope:SCOPE_SE
                                        ; implicit-def: $vgpr4
                                        ; implicit-def: $vgpr24
                                        ; implicit-def: $vgpr10
                                        ; implicit-def: $vgpr14
                                        ; implicit-def: $vgpr18
                                        ; implicit-def: $vgpr22
	s_and_saveexec_b32 s0, vcc_lo
	s_cbranch_execz .LBB0_5
; %bb.4:
	v_add_nc_u32_e32 v4, 0x400, v88
	v_add_nc_u32_e32 v5, 0xc00, v88
	;; [unrolled: 1-line block ×5, first 2 shown]
	ds_load_2addr_b64 v[0:3], v88 offset1:112
	ds_load_2addr_b64 v[20:23], v4 offset0:96 offset1:208
	ds_load_2addr_b64 v[16:19], v5 offset0:64 offset1:176
	;; [unrolled: 1-line block ×5, first 2 shown]
	ds_load_b64 v[24:25], v88 offset:10752
.LBB0_5:
	s_wait_alu 0xfffe
	s_or_b32 exec_lo, exec_lo, s0
	s_wait_dscnt 0x0
	v_dual_sub_f32 v76, v3, v25 :: v_dual_sub_f32 v69, v2, v24
	v_add_f32_e32 v65, v24, v2
	v_dual_add_f32 v73, v25, v3 :: v_dual_sub_f32 v94, v23, v5
	v_add_f32_e32 v77, v10, v16
	s_delay_alu instid0(VALU_DEP_4) | instskip(SKIP_3) | instid1(VALU_DEP_4)
	v_mul_f32_e32 v26, 0xbeedf032, v76
	v_dual_mul_f32 v35, 0xbf52af12, v69 :: v_dual_sub_f32 v78, v20, v6
	v_mul_f32_e32 v31, 0xbf52af12, v76
	v_mul_f32_e32 v40, 0xbf7e222b, v76
	v_fmamk_f32 v28, v65, 0x3f62ad3f, v26
	s_delay_alu instid0(VALU_DEP_4)
	v_fma_f32 v32, 0x3f116cb1, v73, -v35
	v_add_f32_e32 v68, v6, v20
	v_fmamk_f32 v30, v65, 0x3f116cb1, v31
	v_sub_f32_e32 v83, v21, v7
	v_add_f32_e32 v33, v28, v0
	v_mul_f32_e32 v27, 0xbeedf032, v69
	v_add_f32_e32 v32, v32, v1
	v_add_f32_e32 v30, v30, v0
	v_dual_add_f32 v70, v7, v21 :: v_dual_mul_f32 v39, 0xbf6f5d39, v83
	s_delay_alu instid0(VALU_DEP_4) | instskip(SKIP_3) | instid1(VALU_DEP_4)
	v_fma_f32 v29, 0x3f62ad3f, v73, -v27
	v_dual_mul_f32 v46, 0xbe750f2a, v83 :: v_dual_mul_f32 v49, 0xbe750f2a, v78
	v_sub_f32_e32 v86, v22, v4
	v_mul_f32_e32 v98, 0xbf6f5d39, v76
	v_dual_add_f32 v34, v29, v1 :: v_dual_mul_f32 v29, 0xbf52af12, v78
	v_fmamk_f32 v44, v68, 0xbeb58ec6, v39
	v_fmamk_f32 v28, v65, 0x3df6dbef, v40
	v_mul_f32_e32 v43, 0xbf7e222b, v69
	v_fma_f32 v47, 0xbf788fa5, v70, -v49
	v_fma_f32 v41, 0x3f116cb1, v70, -v29
	v_dual_mul_f32 v100, 0x3f29c268, v83 :: v_dual_mul_f32 v109, 0x3f29c268, v78
	v_add_f32_e32 v36, v28, v0
	v_fma_f32 v37, 0x3df6dbef, v73, -v43
	v_mul_f32_e32 v28, 0xbf52af12, v83
	v_sub_f32_e32 v97, v17, v11
	v_mul_f32_e32 v123, 0x3f7e222b, v78
	s_delay_alu instid0(VALU_DEP_4)
	v_dual_mul_f32 v114, 0xbf29c268, v76 :: v_dual_add_f32 v37, v37, v1
	v_mul_f32_e32 v42, 0xbf6f5d39, v78
	v_fmamk_f32 v38, v68, 0x3f116cb1, v28
	v_add_f32_e32 v71, v4, v22
	v_add_f32_e32 v91, v14, v12
	;; [unrolled: 1-line block ×3, first 2 shown]
	v_fma_f32 v45, 0xbeb58ec6, v70, -v42
	v_dual_add_f32 v33, v38, v33 :: v_dual_add_f32 v72, v5, v23
	v_sub_f32_e32 v112, v13, v15
	v_mul_f32_e32 v74, 0x3eedf032, v97
	s_delay_alu instid0(VALU_DEP_4) | instskip(SKIP_3) | instid1(VALU_DEP_4)
	v_dual_add_f32 v32, v45, v32 :: v_dual_mul_f32 v45, 0xbe750f2a, v94
	v_add_f32_e32 v38, v41, v34
	v_dual_mul_f32 v34, 0xbf7e222b, v86 :: v_dual_add_f32 v79, v11, v17
	v_mul_f32_e32 v66, 0x3f6f5d39, v86
	v_fmamk_f32 v51, v71, 0xbf788fa5, v45
	v_sub_f32_e32 v95, v16, v10
	s_delay_alu instid0(VALU_DEP_4) | instskip(SKIP_2) | instid1(VALU_DEP_3)
	v_fma_f32 v50, 0x3df6dbef, v72, -v34
	v_dual_add_f32 v81, v8, v18 :: v_dual_sub_f32 v104, v18, v8
	v_dual_sub_f32 v105, v12, v14 :: v_dual_sub_f32 v108, v19, v9
	v_add_f32_e32 v47, v50, v38
	v_add_f32_e32 v41, v44, v30
	v_fmamk_f32 v44, v68, 0xbf788fa5, v46
	v_mul_f32_e32 v30, 0xbf7e222b, v94
	v_mul_f32_e32 v48, 0xbe750f2a, v86
	;; [unrolled: 1-line block ×3, first 2 shown]
	v_add_f32_e32 v50, v51, v41
	v_add_f32_e32 v36, v44, v36
	v_fmamk_f32 v44, v71, 0x3df6dbef, v30
	v_mul_f32_e32 v61, 0x3f29c268, v97
	v_fmamk_f32 v52, v77, 0xbeb58ec6, v38
	v_mul_f32_e32 v56, 0xbe750f2a, v112
	v_add_f32_e32 v92, v15, v13
	v_add_f32_e32 v33, v44, v33
	v_fma_f32 v41, 0xbf788fa5, v72, -v48
	v_fma_f32 v51, 0xbeb58ec6, v72, -v66
	v_mul_f32_e32 v84, 0x3eedf032, v95
	s_delay_alu instid0(VALU_DEP_4) | instskip(NEXT) | instid1(VALU_DEP_4)
	v_dual_mul_f32 v110, 0x3eedf032, v86 :: v_dual_add_f32 v33, v52, v33
	v_dual_add_f32 v32, v41, v32 :: v_dual_mul_f32 v41, 0xbf6f5d39, v95
	s_delay_alu instid0(VALU_DEP_4) | instskip(SKIP_2) | instid1(VALU_DEP_4)
	v_dual_add_f32 v37, v51, v37 :: v_dual_mul_f32 v60, 0x3f6f5d39, v94
	v_fmamk_f32 v52, v77, 0xbf3f9e67, v61
	v_mul_f32_e32 v63, 0x3f29c268, v95
	v_fma_f32 v51, 0xbeb58ec6, v79, -v41
	v_dual_mul_f32 v99, 0xbf7e222b, v97 :: v_dual_mul_f32 v102, 0xbf7e222b, v95
	s_delay_alu instid0(VALU_DEP_4) | instskip(NEXT) | instid1(VALU_DEP_4)
	v_add_f32_e32 v50, v52, v50
	v_fma_f32 v53, 0xbf3f9e67, v79, -v63
	s_delay_alu instid0(VALU_DEP_4) | instskip(SKIP_2) | instid1(VALU_DEP_4)
	v_add_f32_e32 v51, v51, v47
	v_dual_mul_f32 v47, 0xbf29c268, v104 :: v_dual_add_f32 v82, v9, v19
	v_mul_f32_e32 v59, 0x3f7e222b, v108
	v_dual_add_f32 v32, v53, v32 :: v_dual_mul_f32 v57, 0xbe750f2a, v105
	v_mul_f32_e32 v121, 0x3e750f2a, v95
	s_delay_alu instid0(VALU_DEP_4) | instskip(SKIP_3) | instid1(VALU_DEP_4)
	v_fma_f32 v52, 0xbf3f9e67, v82, -v47
	v_fmamk_f32 v44, v71, 0xbeb58ec6, v60
	v_fmamk_f32 v53, v81, 0x3df6dbef, v59
	v_mul_f32_e32 v67, 0x3f7e222b, v104
	v_dual_mul_f32 v120, 0x3eedf032, v104 :: v_dual_add_f32 v51, v52, v51
	s_delay_alu instid0(VALU_DEP_4)
	v_add_f32_e32 v36, v44, v36
	v_mul_f32_e32 v44, 0xbf29c268, v108
	v_add_f32_e32 v50, v53, v50
	v_fma_f32 v52, 0x3df6dbef, v82, -v67
	v_fmamk_f32 v53, v91, 0xbf788fa5, v56
	v_mul_f32_e32 v62, 0x3eedf032, v112
	v_fmamk_f32 v54, v81, 0xbf3f9e67, v44
	v_mul_f32_e32 v75, 0xbf52af12, v108
	v_add_f32_e32 v52, v52, v32
	v_mul_f32_e32 v85, 0xbf52af12, v104
	v_dual_mul_f32 v80, 0xbf29c268, v112 :: v_dual_mul_f32 v93, 0xbf29c268, v105
	v_add_f32_e32 v33, v54, v33
	v_mul_f32_e32 v107, 0xbf6f5d39, v69
	v_fma_f32 v127, 0x3f62ad3f, v82, -v120
	v_mul_f32_e32 v122, 0xbf29c268, v69
	s_delay_alu instid0(VALU_DEP_4) | instskip(SKIP_2) | instid1(VALU_DEP_4)
	v_dual_mul_f32 v103, 0x3e750f2a, v104 :: v_dual_add_f32 v32, v53, v33
	v_fmamk_f32 v53, v77, 0x3f62ad3f, v74
	v_fma_f32 v54, 0xbf788fa5, v92, -v57
	v_fma_f32 v106, 0xbf3f9e67, v73, -v122
	;; [unrolled: 1-line block ×3, first 2 shown]
	s_delay_alu instid0(VALU_DEP_4) | instskip(NEXT) | instid1(VALU_DEP_4)
	v_dual_mul_f32 v115, 0x3f7e222b, v83 :: v_dual_add_f32 v36, v53, v36
	v_add_f32_e32 v33, v54, v51
	v_fmamk_f32 v51, v91, 0x3f62ad3f, v62
	v_fma_f32 v53, 0x3f62ad3f, v79, -v84
	v_fma_f32 v90, 0xbf3f9e67, v92, -v93
	;; [unrolled: 1-line block ×3, first 2 shown]
	s_delay_alu instid0(VALU_DEP_4) | instskip(SKIP_4) | instid1(VALU_DEP_4)
	v_dual_mul_f32 v101, 0x3e750f2a, v108 :: v_dual_add_f32 v50, v51, v50
	v_fmamk_f32 v55, v81, 0x3f116cb1, v75
	v_mul_f32_e32 v64, 0x3eedf032, v105
	v_add_f32_e32 v37, v53, v37
	v_fmamk_f32 v53, v65, 0xbeb58ec6, v98
	v_dual_mul_f32 v119, 0xbf6f5d39, v105 :: v_dual_add_f32 v36, v55, v36
	s_delay_alu instid0(VALU_DEP_4) | instskip(SKIP_1) | instid1(VALU_DEP_4)
	v_fma_f32 v54, 0x3f62ad3f, v92, -v64
	v_fma_f32 v55, 0xbeb58ec6, v73, -v107
	v_add_f32_e32 v53, v53, v0
	s_delay_alu instid0(VALU_DEP_4) | instskip(NEXT) | instid1(VALU_DEP_4)
	v_fma_f32 v131, 0xbeb58ec6, v92, -v119
	v_dual_mul_f32 v124, 0xbf52af12, v86 :: v_dual_add_f32 v51, v54, v52
	v_fma_f32 v52, 0x3f116cb1, v82, -v85
	v_fmamk_f32 v54, v68, 0xbf3f9e67, v100
	v_mul_f32_e32 v117, 0x3e750f2a, v97
	v_mul_f32_e32 v118, 0x3eedf032, v108
	global_wb scope:SCOPE_SE
	v_dual_add_f32 v37, v52, v37 :: v_dual_fmamk_f32 v52, v91, 0xbf3f9e67, v80
	s_barrier_signal -1
	s_barrier_wait -1
	global_inv scope:SCOPE_SE
	v_add_f32_e32 v52, v52, v36
	v_add_f32_e32 v36, v54, v53
	;; [unrolled: 1-line block ×3, first 2 shown]
	v_fma_f32 v54, 0xbf3f9e67, v70, -v109
	s_delay_alu instid0(VALU_DEP_1) | instskip(SKIP_1) | instid1(VALU_DEP_1)
	v_add_f32_e32 v53, v54, v53
	v_fma_f32 v54, 0x3f62ad3f, v72, -v110
	v_add_f32_e32 v53, v54, v53
	v_fma_f32 v54, 0x3df6dbef, v79, -v102
	s_delay_alu instid0(VALU_DEP_1) | instskip(SKIP_1) | instid1(VALU_DEP_1)
	v_add_f32_e32 v53, v54, v53
	v_fma_f32 v54, 0xbf788fa5, v82, -v103
	v_dual_add_f32 v125, v54, v53 :: v_dual_fmamk_f32 v54, v68, 0x3df6dbef, v115
	v_mul_f32_e32 v96, 0x3eedf032, v94
	s_delay_alu instid0(VALU_DEP_1) | instskip(NEXT) | instid1(VALU_DEP_1)
	v_fmamk_f32 v55, v71, 0x3f62ad3f, v96
	v_dual_add_f32 v36, v55, v36 :: v_dual_fmamk_f32 v55, v77, 0x3df6dbef, v99
	s_delay_alu instid0(VALU_DEP_1) | instskip(NEXT) | instid1(VALU_DEP_1)
	v_dual_add_f32 v36, v55, v36 :: v_dual_fmamk_f32 v55, v81, 0xbf788fa5, v101
	v_dual_add_f32 v36, v55, v36 :: v_dual_fmamk_f32 v55, v65, 0xbf3f9e67, v114
	s_delay_alu instid0(VALU_DEP_1) | instskip(SKIP_1) | instid1(VALU_DEP_1)
	v_add_f32_e32 v53, v55, v0
	v_dual_add_f32 v55, v106, v1 :: v_dual_mul_f32 v106, 0x3f52af12, v112
	v_dual_add_f32 v53, v54, v53 :: v_dual_add_f32 v54, v111, v55
	v_fma_f32 v111, 0x3f116cb1, v72, -v124
	s_delay_alu instid0(VALU_DEP_1) | instskip(NEXT) | instid1(VALU_DEP_4)
	v_dual_add_f32 v54, v111, v54 :: v_dual_mul_f32 v111, 0x3f52af12, v105
	v_fmamk_f32 v126, v91, 0x3f116cb1, v106
	s_delay_alu instid0(VALU_DEP_2) | instskip(NEXT) | instid1(VALU_DEP_3)
	v_dual_add_f32 v54, v113, v54 :: v_dual_mul_f32 v113, 0xbf6f5d39, v112
	v_fma_f32 v128, 0x3f116cb1, v92, -v111
	v_mul_f32_e32 v116, 0xbf52af12, v94
	s_delay_alu instid0(VALU_DEP_3) | instskip(NEXT) | instid1(VALU_DEP_4)
	v_add_f32_e32 v127, v127, v54
	v_fmamk_f32 v130, v91, 0xbeb58ec6, v113
	s_delay_alu instid0(VALU_DEP_3) | instskip(NEXT) | instid1(VALU_DEP_1)
	v_dual_add_f32 v54, v126, v36 :: v_dual_fmamk_f32 v55, v71, 0x3f116cb1, v116
	v_add_f32_e32 v53, v55, v53
	v_fmamk_f32 v55, v77, 0xbf788fa5, v117
	s_delay_alu instid0(VALU_DEP_1) | instskip(SKIP_1) | instid1(VALU_DEP_1)
	v_add_f32_e32 v53, v55, v53
	v_fmamk_f32 v55, v81, 0x3f62ad3f, v118
	v_add_f32_e32 v129, v55, v53
	v_add_f32_e32 v53, v90, v37
	;; [unrolled: 1-line block ×4, first 2 shown]
	v_mul_lo_u16 v90, v89, 13
	v_add_f32_e32 v36, v130, v129
	s_and_saveexec_b32 s0, vcc_lo
	s_cbranch_execz .LBB0_7
; %bb.6:
	v_mul_f32_e32 v76, 0xbe750f2a, v76
	v_mul_f32_e32 v127, 0xbf788fa5, v73
	v_dual_mul_f32 v126, 0x3f62ad3f, v73 :: v_dual_mul_f32 v133, 0x3f62ad3f, v70
	v_mul_f32_e32 v134, 0xbeb58ec6, v65
	s_delay_alu instid0(VALU_DEP_4) | instskip(NEXT) | instid1(VALU_DEP_4)
	v_fmamk_f32 v138, v65, 0xbf788fa5, v76
	v_fmamk_f32 v132, v69, 0x3e750f2a, v127
	v_fmac_f32_e32 v127, 0xbe750f2a, v69
	v_fmamk_f32 v136, v78, 0xbeedf032, v133
	v_mul_f32_e32 v83, 0x3eedf032, v83
	s_delay_alu instid0(VALU_DEP_4) | instskip(SKIP_2) | instid1(VALU_DEP_4)
	v_dual_mul_f32 v137, 0xbf3f9e67, v72 :: v_dual_add_f32 v132, v132, v1
	v_mul_f32_e32 v125, 0x3f62ad3f, v65
	v_dual_mul_f32 v129, 0x3f116cb1, v73 :: v_dual_add_f32 v138, v138, v0
	v_fmamk_f32 v140, v68, 0x3f62ad3f, v83
	s_delay_alu instid0(VALU_DEP_4) | instskip(SKIP_4) | instid1(VALU_DEP_4)
	v_dual_mul_f32 v135, 0xbeb58ec6, v73 :: v_dual_add_f32 v132, v136, v132
	v_fmamk_f32 v136, v86, 0x3f29c268, v137
	v_mul_f32_e32 v131, 0x3df6dbef, v73
	v_mul_f32_e32 v73, 0xbf3f9e67, v73
	v_dual_mul_f32 v128, 0x3f116cb1, v65 :: v_dual_mul_f32 v141, 0x3f116cb1, v68
	v_add_f32_e32 v132, v136, v132
	s_delay_alu instid0(VALU_DEP_3)
	v_dual_mul_f32 v142, 0x3f116cb1, v70 :: v_dual_add_f32 v73, v122, v73
	v_add_f32_e32 v138, v140, v138
	v_mul_f32_e32 v140, 0xbf29c268, v94
	v_dual_add_f32 v94, v127, v1 :: v_dual_mul_f32 v127, 0xbeb58ec6, v82
	v_mul_f32_e32 v139, 0xbf3f9e67, v65
	v_dual_mul_f32 v136, 0x3f116cb1, v79 :: v_dual_add_f32 v73, v73, v1
	v_fmac_f32_e32 v137, 0xbf29c268, v86
	v_mul_f32_e32 v86, 0xbf6f5d39, v108
	v_fmamk_f32 v108, v104, 0x3f6f5d39, v127
	v_fmac_f32_e32 v127, 0xbf6f5d39, v104
	v_fmac_f32_e32 v133, 0x3eedf032, v78
	v_fmamk_f32 v78, v71, 0xbf3f9e67, v140
	v_fmamk_f32 v69, v95, 0xbf52af12, v136
	v_fmac_f32_e32 v136, 0x3f52af12, v95
	v_mul_f32_e32 v104, 0xbf788fa5, v70
	v_add_f32_e32 v94, v133, v94
	v_dual_add_f32 v78, v78, v138 :: v_dual_mul_f32 v97, 0x3f52af12, v97
	v_dual_mul_f32 v130, 0x3df6dbef, v65 :: v_dual_add_f32 v69, v69, v132
	s_delay_alu instid0(VALU_DEP_3) | instskip(NEXT) | instid1(VALU_DEP_3)
	v_dual_mul_f32 v133, 0xbeb58ec6, v68 :: v_dual_add_f32 v94, v137, v94
	v_fmamk_f32 v132, v77, 0x3f116cb1, v97
	v_dual_fmamk_f32 v137, v81, 0xbeb58ec6, v86 :: v_dual_mul_f32 v138, 0xbeb58ec6, v70
	s_delay_alu instid0(VALU_DEP_4) | instskip(NEXT) | instid1(VALU_DEP_4)
	v_add_f32_e32 v69, v108, v69
	v_add_f32_e32 v136, v136, v94
	s_delay_alu instid0(VALU_DEP_4)
	v_add_f32_e32 v78, v132, v78
	v_fma_f32 v97, 0x3f116cb1, v77, -v97
	v_mul_f32_e32 v112, 0x3f7e222b, v112
	v_fma_f32 v65, 0xbf788fa5, v65, -v76
	v_mul_f32_e32 v122, 0xbf788fa5, v71
	v_dual_add_f32 v78, v137, v78 :: v_dual_mul_f32 v137, 0xbf788fa5, v68
	s_delay_alu instid0(VALU_DEP_3) | instskip(SKIP_1) | instid1(VALU_DEP_2)
	v_dual_fmamk_f32 v108, v91, 0x3df6dbef, v112 :: v_dual_add_f32 v65, v65, v0
	v_dual_sub_f32 v39, v133, v39 :: v_dual_add_f32 v2, v2, v0
	v_dual_mul_f32 v143, 0x3f116cb1, v91 :: v_dual_add_f32 v94, v108, v78
	v_add_f32_e32 v108, v127, v136
	v_mul_f32_e32 v127, 0x3df6dbef, v68
	v_mul_f32_e32 v132, 0x3df6dbef, v92
	;; [unrolled: 1-line block ×4, first 2 shown]
	v_sub_f32_e32 v114, v139, v114
	v_sub_f32_e32 v115, v127, v115
	v_fmamk_f32 v95, v105, 0xbf7e222b, v132
	s_delay_alu instid0(VALU_DEP_4) | instskip(NEXT) | instid1(VALU_DEP_4)
	v_dual_mul_f32 v127, 0xbf3f9e67, v79 :: v_dual_add_f32 v70, v123, v70
	v_add_f32_e32 v114, v114, v0
	s_delay_alu instid0(VALU_DEP_3) | instskip(SKIP_2) | instid1(VALU_DEP_4)
	v_dual_mul_f32 v136, 0xbeb58ec6, v71 :: v_dual_add_f32 v95, v95, v69
	v_mul_f32_e32 v69, 0xbf3f9e67, v68
	v_fma_f32 v68, 0x3f62ad3f, v68, -v83
	v_add_f32_e32 v114, v115, v114
	v_dual_mul_f32 v76, 0x3df6dbef, v71 :: v_dual_mul_f32 v83, 0x3df6dbef, v72
	v_mul_f32_e32 v123, 0xbf788fa5, v72
	s_delay_alu instid0(VALU_DEP_4)
	v_add_f32_e32 v65, v68, v65
	v_add_f32_e32 v68, v70, v73
	v_fma_f32 v73, 0xbf3f9e67, v71, -v140
	v_dual_mul_f32 v70, 0xbeb58ec6, v72 :: v_dual_mul_f32 v139, 0xbeb58ec6, v79
	v_mul_f32_e32 v140, 0x3f62ad3f, v91
	v_sub_f32_e32 v100, v69, v100
	s_delay_alu instid0(VALU_DEP_4)
	v_add_f32_e32 v65, v73, v65
	v_mul_f32_e32 v73, 0xbf788fa5, v79
	v_fma_f32 v86, 0xbeb58ec6, v81, -v86
	v_add_f32_e32 v107, v107, v135
	v_add_f32_e32 v49, v49, v104
	;; [unrolled: 1-line block ×3, first 2 shown]
	v_mul_f32_e32 v115, 0x3f62ad3f, v82
	v_add_f32_e32 v73, v121, v73
	v_mul_f32_e32 v121, 0xbf3f9e67, v77
	v_mul_f32_e32 v97, 0x3f62ad3f, v77
	v_add_f32_e32 v86, v86, v65
	v_dual_fmac_f32 v132, 0x3f7e222b, v105 :: v_dual_add_f32 v115, v120, v115
	v_mul_f32_e32 v105, 0x3f116cb1, v72
	v_dual_mul_f32 v72, 0x3f62ad3f, v72 :: v_dual_mul_f32 v65, 0x3f62ad3f, v81
	v_dual_add_f32 v78, v109, v78 :: v_dual_add_f32 v107, v107, v1
	s_delay_alu instid0(VALU_DEP_3) | instskip(SKIP_1) | instid1(VALU_DEP_4)
	v_dual_add_f32 v105, v124, v105 :: v_dual_mul_f32 v124, 0x3f62ad3f, v71
	v_dual_mul_f32 v71, 0x3f116cb1, v71 :: v_dual_sub_f32 v98, v134, v98
	v_sub_f32_e32 v65, v65, v118
	s_delay_alu instid0(VALU_DEP_3) | instskip(NEXT) | instid1(VALU_DEP_3)
	v_dual_add_f32 v68, v105, v68 :: v_dual_mul_f32 v105, 0xbeb58ec6, v77
	v_dual_sub_f32 v71, v71, v116 :: v_dual_mul_f32 v116, 0x3df6dbef, v77
	s_delay_alu instid0(VALU_DEP_2) | instskip(SKIP_3) | instid1(VALU_DEP_4)
	v_dual_mul_f32 v77, 0xbf788fa5, v77 :: v_dual_add_f32 v68, v73, v68
	v_mul_f32_e32 v73, 0x3f62ad3f, v79
	v_mul_f32_e32 v79, 0x3df6dbef, v79
	v_dual_mul_f32 v109, 0xbf788fa5, v91 :: v_dual_add_f32 v72, v110, v72
	v_sub_f32_e32 v77, v77, v117
	v_add_f32_e32 v71, v71, v114
	v_mul_f32_e32 v114, 0xbf3f9e67, v82
	v_mul_f32_e32 v110, 0xbf3f9e67, v91
	v_dual_mul_f32 v135, 0xbeb58ec6, v92 :: v_dual_add_f32 v78, v78, v107
	v_dual_mul_f32 v117, 0x3df6dbef, v81 :: v_dual_add_f32 v68, v115, v68
	;; [unrolled: 1-line block ×3, first 2 shown]
	s_delay_alu instid0(VALU_DEP_3)
	v_add_f32_e32 v119, v119, v135
	v_mul_f32_e32 v115, 0x3df6dbef, v82
	v_dual_mul_f32 v77, 0x3f116cb1, v81 :: v_dual_mul_f32 v118, 0x3f116cb1, v82
	v_dual_mul_f32 v81, 0xbf788fa5, v81 :: v_dual_mul_f32 v82, 0xbf788fa5, v82
	v_fma_f32 v112, 0x3df6dbef, v91, -v112
	v_mul_f32_e32 v91, 0xbeb58ec6, v91
	v_add_f32_e32 v69, v119, v68
	v_dual_add_f32 v68, v98, v0 :: v_dual_add_f32 v43, v43, v131
	v_dual_mul_f32 v135, 0xbf788fa5, v92 :: v_dual_add_f32 v72, v72, v78
	v_dual_add_f32 v71, v65, v71 :: v_dual_mul_f32 v134, 0xbf3f9e67, v92
	v_dual_mul_f32 v107, 0x3f62ad3f, v92 :: v_dual_add_f32 v78, v102, v79
	v_dual_mul_f32 v92, 0x3f116cb1, v92 :: v_dual_sub_f32 v91, v91, v113
	v_add_f32_e32 v68, v100, v68
	v_sub_f32_e32 v79, v124, v96
	s_delay_alu instid0(VALU_DEP_4) | instskip(SKIP_1) | instid1(VALU_DEP_3)
	v_dual_add_f32 v43, v43, v1 :: v_dual_add_f32 v72, v78, v72
	v_dual_add_f32 v65, v132, v108 :: v_dual_add_f32 v78, v103, v82
	v_dual_add_f32 v68, v79, v68 :: v_dual_sub_f32 v79, v116, v99
	s_delay_alu instid0(VALU_DEP_3) | instskip(SKIP_1) | instid1(VALU_DEP_4)
	v_add_f32_e32 v43, v49, v43
	v_dual_add_f32 v49, v66, v70 :: v_dual_add_f32 v70, v111, v92
	v_add_f32_e32 v66, v78, v72
	s_delay_alu instid0(VALU_DEP_4) | instskip(SKIP_1) | instid1(VALU_DEP_4)
	v_add_f32_e32 v72, v79, v68
	v_sub_f32_e32 v78, v81, v101
	v_add_f32_e32 v43, v49, v43
	v_dual_add_f32 v49, v84, v73 :: v_dual_add_f32 v68, v91, v71
	v_dual_sub_f32 v71, v130, v40 :: v_dual_sub_f32 v46, v137, v46
	v_add_f32_e32 v40, v70, v66
	s_delay_alu instid0(VALU_DEP_3) | instskip(NEXT) | instid1(VALU_DEP_3)
	v_dual_add_f32 v66, v78, v72 :: v_dual_add_f32 v43, v49, v43
	v_dual_add_f32 v70, v71, v0 :: v_dual_add_f32 v49, v85, v118
	v_dual_sub_f32 v60, v136, v60 :: v_dual_add_f32 v35, v35, v129
	v_add_f32_e32 v42, v42, v138
	s_delay_alu instid0(VALU_DEP_3) | instskip(SKIP_1) | instid1(VALU_DEP_4)
	v_dual_add_f32 v46, v46, v70 :: v_dual_add_f32 v43, v49, v43
	v_sub_f32_e32 v71, v143, v106
	v_add_f32_e32 v35, v35, v1
	v_add_f32_e32 v49, v93, v134
	s_delay_alu instid0(VALU_DEP_4) | instskip(SKIP_1) | instid1(VALU_DEP_4)
	v_add_f32_e32 v46, v60, v46
	v_dual_add_f32 v20, v20, v2 :: v_dual_add_f32 v3, v3, v1
	v_add_f32_e32 v35, v42, v35
	v_add_f32_e32 v42, v48, v123
	v_sub_f32_e32 v48, v77, v75
	s_delay_alu instid0(VALU_DEP_4) | instskip(NEXT) | instid1(VALU_DEP_3)
	v_dual_add_f32 v20, v22, v20 :: v_dual_add_f32 v3, v21, v3
	v_dual_add_f32 v22, v27, v126 :: v_dual_add_f32 v35, v42, v35
	v_add_f32_e32 v42, v63, v127
	v_add_f32_e32 v43, v49, v43
	v_sub_f32_e32 v49, v97, v74
	v_dual_add_f32 v3, v23, v3 :: v_dual_add_f32 v16, v16, v20
	s_delay_alu instid0(VALU_DEP_4) | instskip(SKIP_1) | instid1(VALU_DEP_4)
	v_add_f32_e32 v35, v42, v35
	v_add_f32_e32 v42, v67, v115
	v_dual_sub_f32 v31, v128, v31 :: v_dual_add_f32 v46, v49, v46
	s_delay_alu instid0(VALU_DEP_4) | instskip(SKIP_1) | instid1(VALU_DEP_4)
	v_add_f32_e32 v3, v17, v3
	v_sub_f32_e32 v17, v125, v26
	v_add_f32_e32 v35, v42, v35
	s_delay_alu instid0(VALU_DEP_4)
	v_add_f32_e32 v31, v31, v0
	v_add_f32_e32 v16, v18, v16
	;; [unrolled: 1-line block ×4, first 2 shown]
	v_sub_f32_e32 v17, v141, v28
	v_add_f32_e32 v31, v39, v31
	v_sub_f32_e32 v39, v122, v45
	v_dual_add_f32 v45, v48, v46 :: v_dual_sub_f32 v46, v110, v80
	v_add_f32_e32 v48, v64, v107
	v_dual_add_f32 v12, v12, v16 :: v_dual_sub_f32 v21, v117, v59
	v_sub_f32_e32 v16, v76, v30
	s_delay_alu instid0(VALU_DEP_4) | instskip(NEXT) | instid1(VALU_DEP_4)
	v_dual_add_f32 v42, v46, v45 :: v_dual_add_f32 v31, v39, v31
	v_dual_sub_f32 v39, v121, v61 :: v_dual_add_f32 v2, v48, v35
	s_delay_alu instid0(VALU_DEP_4) | instskip(SKIP_1) | instid1(VALU_DEP_3)
	v_add_f32_e32 v12, v14, v12
	v_dual_add_f32 v1, v22, v1 :: v_dual_add_f32 v64, v112, v86
	v_add_f32_e32 v31, v39, v31
	s_delay_alu instid0(VALU_DEP_3) | instskip(SKIP_2) | instid1(VALU_DEP_3)
	v_dual_add_f32 v39, v71, v66 :: v_dual_add_f32 v8, v8, v12
	v_sub_f32_e32 v23, v140, v62
	v_add_f32_e32 v12, v47, v114
	v_add_f32_e32 v8, v10, v8
	v_and_b32_e32 v10, 0xffff, v90
	v_add_f32_e32 v0, v17, v0
	s_delay_alu instid0(VALU_DEP_3) | instskip(SKIP_1) | instid1(VALU_DEP_3)
	v_dual_add_f32 v21, v21, v31 :: v_dual_add_f32 v4, v4, v8
	v_sub_f32_e32 v8, v109, v56
	v_dual_add_f32 v0, v16, v0 :: v_dual_add_f32 v3, v19, v3
	s_delay_alu instid0(VALU_DEP_1) | instskip(SKIP_1) | instid1(VALU_DEP_2)
	v_add_f32_e32 v3, v13, v3
	v_add_f32_e32 v13, v34, v83
	;; [unrolled: 1-line block ×3, first 2 shown]
	s_delay_alu instid0(VALU_DEP_1) | instskip(SKIP_1) | instid1(VALU_DEP_1)
	v_add_f32_e32 v3, v9, v3
	v_sub_f32_e32 v9, v105, v38
	v_dual_add_f32 v3, v11, v3 :: v_dual_add_f32 v0, v9, v0
	s_delay_alu instid0(VALU_DEP_1) | instskip(SKIP_1) | instid1(VALU_DEP_2)
	v_add_f32_e32 v3, v5, v3
	v_add_f32_e32 v5, v57, v135
	;; [unrolled: 1-line block ×3, first 2 shown]
	v_sub_f32_e32 v9, v120, v44
	s_delay_alu instid0(VALU_DEP_1) | instskip(NEXT) | instid1(VALU_DEP_1)
	v_dual_add_f32 v1, v20, v1 :: v_dual_add_f32 v0, v9, v0
	v_add_f32_e32 v1, v13, v1
	v_add_f32_e32 v13, v41, v139
	v_dual_add_f32 v9, v6, v4 :: v_dual_add_f32 v6, v25, v7
	s_delay_alu instid0(VALU_DEP_4) | instskip(NEXT) | instid1(VALU_DEP_3)
	v_dual_add_f32 v3, v8, v0 :: v_dual_lshlrev_b32 v0, 3, v10
	v_add_f32_e32 v1, v13, v1
	s_delay_alu instid0(VALU_DEP_1) | instskip(NEXT) | instid1(VALU_DEP_1)
	v_add_f32_e32 v1, v12, v1
	v_add_f32_e32 v4, v5, v1
	;; [unrolled: 1-line block ×4, first 2 shown]
	ds_store_2addr_b64 v0, v[5:6], v[3:4] offset1:1
	ds_store_2addr_b64 v0, v[1:2], v[42:43] offset0:2 offset1:3
	ds_store_2addr_b64 v0, v[39:40], v[68:69] offset0:4 offset1:5
	;; [unrolled: 1-line block ×5, first 2 shown]
	ds_store_b64 v0, v[32:33] offset:96
.LBB0_7:
	s_wait_alu 0xfffe
	s_or_b32 exec_lo, exec_lo, s0
	v_and_b32_e32 v1, 0xff, v89
	v_add_nc_u16 v0, v89, 0xb6
	s_load_b128 s[4:7], s[4:5], 0x0
	global_wb scope:SCOPE_SE
	s_wait_dscnt 0x0
	s_wait_kmcnt 0x0
	s_barrier_signal -1
	v_mul_lo_u16 v2, 0x4f, v1
	v_and_b32_e32 v1, 0xffff, v0
	s_barrier_wait -1
	global_inv scope:SCOPE_SE
                                        ; implicit-def: $vgpr63
	v_lshrrev_b16 v11, 10, v2
	v_mul_u32_u24_e32 v1, 0x4ec5, v1
	s_delay_alu instid0(VALU_DEP_2) | instskip(NEXT) | instid1(VALU_DEP_2)
	v_mul_lo_u16 v3, v11, 13
	v_lshrrev_b32_e32 v24, 18, v1
	s_delay_alu instid0(VALU_DEP_2) | instskip(NEXT) | instid1(VALU_DEP_2)
	v_sub_nc_u16 v3, v89, v3
	v_mul_lo_u16 v4, v24, 13
	s_delay_alu instid0(VALU_DEP_2) | instskip(NEXT) | instid1(VALU_DEP_2)
	v_and_b32_e32 v28, 0xff, v3
	v_sub_nc_u16 v25, v0, v4
	s_delay_alu instid0(VALU_DEP_2) | instskip(NEXT) | instid1(VALU_DEP_2)
	v_mad_co_u64_u32 v[3:4], null, v28, 24, s[2:3]
	v_mul_lo_u16 v5, v25, 24
	v_mad_u16 v24, v24, 52, v25
	s_clause 0x1
	global_load_b128 v[12:15], v[3:4], off
	global_load_b64 v[61:62], v[3:4], off offset:16
	v_and_b32_e32 v5, 0xffff, v5
	v_add_nc_u32_e32 v7, 0x1600, v88
	v_add_nc_u32_e32 v20, 0x2000, v88
	s_delay_alu instid0(VALU_DEP_3)
	v_add_co_u32 v3, s0, s2, v5
	s_wait_alu 0xf1ff
	v_add_co_ci_u32_e64 v4, null, s3, 0, s0
	v_cmp_gt_u16_e64 s0, 26, v89
	s_clause 0x1
	global_load_b128 v[16:19], v[3:4], off
	global_load_b64 v[59:60], v[3:4], off offset:16
	v_add_nc_u32_e32 v3, 0xa00, v88
	ds_load_2addr_b64 v[3:6], v3 offset0:44 offset1:226
	ds_load_2addr_b64 v[7:10], v7 offset0:24 offset1:206
	;; [unrolled: 1-line block ×3, first 2 shown]
	v_and_b32_e32 v11, 0xffff, v11
	v_and_b32_e32 v29, 0xffff, v24
	ds_load_2addr_b64 v[24:27], v88 offset1:182
	v_add_nc_u32_e32 v30, 0xc00, v88
	v_add_nc_u32_e32 v31, 0x1a00, v88
	v_mul_u32_u24_e32 v11, 52, v11
	v_lshlrev_b32_e32 v92, 3, v29
	global_wb scope:SCOPE_SE
	s_wait_loadcnt_dscnt 0x0
	s_barrier_signal -1
	s_barrier_wait -1
	v_add_lshl_u32 v93, v11, v28, 3
	global_inv scope:SCOPE_SE
	v_mul_f32_e32 v11, v4, v13
	v_dual_mul_f32 v28, v3, v13 :: v_dual_mul_f32 v29, v8, v15
	v_dual_mul_f32 v34, v7, v15 :: v_dual_mul_f32 v35, v21, v62
	v_mul_f32_e32 v38, v20, v62
	s_delay_alu instid0(VALU_DEP_4) | instskip(NEXT) | instid1(VALU_DEP_4)
	v_fma_f32 v3, v3, v12, -v11
	v_fmac_f32_e32 v28, v4, v12
	v_fma_f32 v4, v7, v14, -v29
	v_fmac_f32_e32 v34, v8, v14
	;; [unrolled: 2-line block ×3, first 2 shown]
	v_dual_mul_f32 v21, v9, v19 :: v_dual_mul_f32 v8, v6, v17
	v_dual_mul_f32 v20, v10, v19 :: v_dual_mul_f32 v11, v5, v17
	v_dual_mul_f32 v29, v23, v60 :: v_dual_sub_f32 v34, v25, v34
	v_mul_f32_e32 v35, v22, v60
	v_dual_sub_f32 v39, v24, v4 :: v_dual_sub_f32 v4, v3, v7
	v_sub_f32_e32 v7, v28, v38
	v_fma_f32 v38, v5, v16, -v8
	v_fma_f32 v5, v9, v18, -v20
	v_fmac_f32_e32 v11, v6, v16
	v_fma_f32 v6, v22, v59, -v29
	v_fma_f32 v8, v3, 2.0, -v4
	v_add_f32_e32 v4, v34, v4
	v_fma_f32 v20, v28, 2.0, -v7
	v_fmac_f32_e32 v35, v23, v59
	v_fmac_f32_e32 v21, v10, v18
	v_sub_f32_e32 v22, v26, v5
	v_fma_f32 v9, v24, 2.0, -v39
	v_fma_f32 v10, v25, 2.0, -v34
	v_sub_f32_e32 v24, v11, v35
	v_sub_f32_e32 v3, v39, v7
	v_fma_f32 v25, v26, 2.0, -v22
	v_sub_f32_e32 v23, v27, v21
	v_sub_f32_e32 v21, v38, v6
	;; [unrolled: 1-line block ×3, first 2 shown]
	v_fma_f32 v11, v11, 2.0, -v24
	v_sub_f32_e32 v5, v9, v8
	v_fma_f32 v8, v34, 2.0, -v4
	v_fma_f32 v20, v38, 2.0, -v21
	v_sub_f32_e32 v34, v22, v24
	v_fma_f32 v7, v39, 2.0, -v3
	v_fma_f32 v9, v9, 2.0, -v5
	;; [unrolled: 1-line block ×3, first 2 shown]
	v_sub_f32_e32 v20, v25, v20
	v_fma_f32 v26, v27, 2.0, -v23
	v_add_f32_e32 v35, v23, v21
	v_fma_f32 v22, v22, 2.0, -v34
	s_delay_alu instid0(VALU_DEP_4) | instskip(NEXT) | instid1(VALU_DEP_4)
	v_fma_f32 v24, v25, 2.0, -v20
	v_sub_f32_e32 v21, v26, v11
	s_delay_alu instid0(VALU_DEP_4) | instskip(NEXT) | instid1(VALU_DEP_2)
	v_fma_f32 v23, v23, 2.0, -v35
	v_fma_f32 v25, v26, 2.0, -v21
	ds_store_2addr_b64 v93, v[5:6], v[3:4] offset0:26 offset1:39
	ds_store_2addr_b64 v93, v[9:10], v[7:8] offset1:13
	ds_store_2addr_b64 v92, v[20:21], v[34:35] offset0:26 offset1:39
	ds_store_2addr_b64 v92, v[24:25], v[22:23] offset1:13
	global_wb scope:SCOPE_SE
	s_wait_dscnt 0x0
	s_barrier_signal -1
	s_barrier_wait -1
	global_inv scope:SCOPE_SE
	ds_load_2addr_b64 v[38:41], v88 offset1:208
	ds_load_2addr_b64 v[46:49], v30 offset0:32 offset1:240
	ds_load_2addr_b64 v[42:45], v31 offset1:208
	ds_load_b64 v[56:57], v88 offset:9984
	s_and_saveexec_b32 s1, s0
	s_cbranch_execz .LBB0_9
; %bb.8:
	v_add_nc_u32_e32 v3, 0x1200, v88
	v_add_nc_u32_e32 v7, 0x1f00, v88
	ds_load_2addr_b64 v[3:6], v3 offset0:22 offset1:230
	s_wait_dscnt 0x0
	v_dual_mov_b32 v53, v6 :: v_dual_add_nc_u32 v8, 0x500, v88
	ds_load_2addr_b64 v[30:33], v7 offset0:22 offset1:230
	ds_load_2addr_b64 v[34:37], v8 offset0:22 offset1:230
	ds_load_b64 v[63:64], v88 offset:11440
	v_dual_mov_b32 v52, v5 :: v_dual_mov_b32 v55, v4
	v_mov_b32_e32 v54, v3
	s_wait_dscnt 0x2
	v_dual_mov_b32 v50, v30 :: v_dual_mov_b32 v51, v31
.LBB0_9:
	s_wait_alu 0xfffe
	s_or_b32 exec_lo, exec_lo, s1
	v_lshrrev_b16 v65, 12, v2
	v_lshrrev_b32_e32 v1, 20, v1
	s_delay_alu instid0(VALU_DEP_2) | instskip(NEXT) | instid1(VALU_DEP_2)
	v_mul_lo_u16 v2, v65, 52
	v_mul_lo_u16 v1, v1, 52
	s_delay_alu instid0(VALU_DEP_2) | instskip(NEXT) | instid1(VALU_DEP_2)
	v_sub_nc_u16 v2, v89, v2
	v_sub_nc_u16 v67, v0, v1
	s_delay_alu instid0(VALU_DEP_2) | instskip(NEXT) | instid1(VALU_DEP_2)
	v_and_b32_e32 v66, 0xff, v2
	v_mul_lo_u16 v2, v67, 48
	s_delay_alu instid0(VALU_DEP_2)
	v_mad_co_u64_u32 v[0:1], null, v66, 48, s[2:3]
	s_clause 0x1
	global_load_b128 v[28:31], v[0:1], off offset:312
	global_load_b128 v[20:23], v[0:1], off offset:328
	v_and_b32_e32 v2, 0xffff, v2
	v_and_b32_e32 v65, 0xffff, v65
	;; [unrolled: 1-line block ×3, first 2 shown]
	s_wait_loadcnt_dscnt 0x102
	v_mul_f32_e32 v69, v46, v31
	v_add_co_u32 v8, s1, s2, v2
	s_wait_alu 0xf1ff
	v_add_co_ci_u32_e64 v9, null, s3, 0, s1
	v_mul_f32_e32 v68, v47, v31
	s_clause 0x3
	global_load_b128 v[24:27], v[0:1], off offset:344
	global_load_b128 v[4:7], v[8:9], off offset:312
	;; [unrolled: 1-line block ×4, first 2 shown]
	v_mul_u32_u24_e32 v65, 0x16c, v65
	v_mul_f32_e32 v67, v40, v29
	s_wait_loadcnt 0x4
	v_mul_f32_e32 v70, v49, v21
	s_wait_dscnt 0x1
	v_dual_mul_f32 v71, v48, v21 :: v_dual_mul_f32 v72, v43, v23
	v_add_lshl_u32 v94, v65, v66, 3
	v_dual_mul_f32 v66, v41, v29 :: v_dual_mul_f32 v73, v42, v23
	global_wb scope:SCOPE_SE
	s_wait_loadcnt_dscnt 0x0
	v_fma_f32 v42, v42, v22, -v72
	v_add_nc_u32_e32 v65, 0x400, v94
	v_fma_f32 v40, v40, v28, -v66
	s_barrier_signal -1
	s_barrier_wait -1
	global_inv scope:SCOPE_SE
	v_fmac_f32_e32 v67, v41, v28
	v_fma_f32 v41, v46, v30, -v68
	v_fma_f32 v46, v48, v20, -v70
	v_mul_f32_e32 v74, v45, v25
	v_dual_mul_f32 v75, v44, v25 :: v_dual_mul_f32 v76, v57, v27
	v_dual_mul_f32 v77, v56, v27 :: v_dual_mul_f32 v78, v37, v5
	;; [unrolled: 1-line block ×6, first 2 shown]
	v_mul_f32_e32 v96, v64, v11
	v_fma_f32 v36, v36, v4, -v78
	v_fmac_f32_e32 v73, v43, v22
	v_fma_f32 v43, v44, v24, -v74
	v_fma_f32 v44, v56, v26, -v76
	v_mul_f32_e32 v95, v32, v9
	v_mul_f32_e32 v97, v63, v11
	v_fmac_f32_e32 v69, v47, v30
	v_fmac_f32_e32 v75, v45, v24
	;; [unrolled: 1-line block ×3, first 2 shown]
	v_fma_f32 v37, v54, v6, -v80
	v_fma_f32 v45, v52, v0, -v82
	;; [unrolled: 1-line block ×4, first 2 shown]
	v_add_f32_e32 v48, v40, v44
	v_add_f32_e32 v50, v41, v43
	;; [unrolled: 1-line block ×3, first 2 shown]
	v_dual_sub_f32 v42, v42, v46 :: v_dual_fmac_f32 v83, v53, v0
	v_dual_fmac_f32 v85, v51, v2 :: v_dual_add_f32 v56, v37, v32
	v_dual_sub_f32 v40, v40, v44 :: v_dual_add_f32 v51, v69, v75
	v_dual_add_f32 v66, v50, v48 :: v_dual_sub_f32 v41, v41, v43
	v_sub_f32_e32 v68, v50, v48
	v_dual_sub_f32 v50, v52, v50 :: v_dual_fmac_f32 v95, v33, v8
	v_fma_f32 v33, v63, v10, -v96
	v_dual_fmac_f32 v97, v64, v10 :: v_dual_sub_f32 v32, v37, v32
	v_fmac_f32_e32 v77, v57, v26
	v_dual_sub_f32 v43, v69, v75 :: v_dual_add_f32 v70, v42, v41
	s_delay_alu instid0(VALU_DEP_4) | instskip(SKIP_3) | instid1(VALU_DEP_4)
	v_dual_add_f32 v54, v36, v33 :: v_dual_add_f32 v63, v45, v47
	v_sub_f32_e32 v48, v48, v52
	v_add_f32_e32 v64, v83, v85
	v_dual_sub_f32 v45, v47, v45 :: v_dual_add_f32 v52, v52, v66
	v_sub_f32_e32 v76, v56, v54
	v_sub_f32_e32 v33, v36, v33
	v_dual_sub_f32 v36, v79, v97 :: v_dual_fmac_f32 v71, v49, v20
	v_sub_f32_e32 v44, v67, v77
	v_fmac_f32_e32 v81, v55, v6
	v_add_f32_e32 v49, v67, v77
	v_sub_f32_e32 v72, v42, v41
	v_dual_add_f32 v53, v71, v73 :: v_dual_sub_f32 v74, v40, v42
	v_dual_sub_f32 v46, v73, v71 :: v_dual_add_f32 v55, v79, v97
	v_add_f32_e32 v57, v81, v95
	v_dual_sub_f32 v37, v81, v95 :: v_dual_add_f32 v42, v56, v54
	v_dual_add_f32 v67, v51, v49 :: v_dual_add_f32 v78, v45, v32
	v_dual_sub_f32 v69, v51, v49 :: v_dual_sub_f32 v80, v45, v32
	v_dual_sub_f32 v49, v49, v53 :: v_dual_add_f32 v66, v70, v40
	v_add_f32_e32 v71, v46, v43
	v_sub_f32_e32 v41, v41, v40
	v_mul_f32_e32 v40, 0x3f4a47b2, v48
	s_delay_alu instid0(VALU_DEP_4)
	v_dual_mul_f32 v48, 0x3f4a47b2, v49 :: v_dual_sub_f32 v73, v46, v43
	v_dual_sub_f32 v47, v85, v83 :: v_dual_sub_f32 v56, v63, v56
	v_dual_sub_f32 v46, v44, v46 :: v_dual_sub_f32 v75, v43, v44
	v_dual_add_f32 v43, v57, v55 :: v_dual_mul_f32 v70, 0xbf08b237, v72
	v_sub_f32_e32 v54, v54, v63
	v_dual_sub_f32 v51, v53, v51 :: v_dual_sub_f32 v32, v32, v33
	v_dual_add_f32 v44, v71, v44 :: v_dual_mul_f32 v71, 0xbf08b237, v73
	v_add_f32_e32 v53, v53, v67
	v_add_f32_e32 v63, v63, v42
	v_mul_f32_e32 v49, 0x3d64c772, v50
	v_add_f32_e32 v79, v47, v37
	v_dual_sub_f32 v81, v47, v37 :: v_dual_mul_f32 v80, 0xbf08b237, v80
	v_dual_sub_f32 v45, v33, v45 :: v_dual_mul_f32 v82, 0x3f5ff5aa, v32
	v_dual_sub_f32 v47, v36, v47 :: v_dual_add_f32 v42, v38, v52
	v_dual_sub_f32 v37, v37, v36 :: v_dual_fmamk_f32 v38, v50, 0x3d64c772, v40
	v_mul_f32_e32 v72, 0x3f5ff5aa, v41
	v_dual_add_f32 v33, v78, v33 :: v_dual_mul_f32 v54, 0x3f4a47b2, v54
	v_dual_mul_f32 v67, 0x3d64c772, v51 :: v_dual_mul_f32 v78, 0x3d64c772, v56
	v_dual_sub_f32 v77, v57, v55 :: v_dual_add_f32 v36, v79, v36
	v_sub_f32_e32 v55, v55, v64
	v_sub_f32_e32 v57, v64, v57
	v_dual_add_f32 v64, v64, v43 :: v_dual_add_f32 v43, v39, v53
	v_fmamk_f32 v39, v51, 0x3d64c772, v48
	v_mul_f32_e32 v73, 0x3f5ff5aa, v75
	v_fma_f32 v51, 0xbf3bfb3b, v68, -v40
	v_add_f32_e32 v40, v34, v63
	v_fma_f32 v49, 0x3f3bfb3b, v68, -v49
	v_fmamk_f32 v68, v46, 0x3eae86e6, v71
	v_fma_f32 v48, 0xbf3bfb3b, v69, -v48
	v_fmamk_f32 v34, v56, 0x3d64c772, v54
	;; [unrolled: 2-line block ×3, first 2 shown]
	v_fma_f32 v69, 0x3f5ff5aa, v41, -v70
	v_fma_f32 v70, 0x3f5ff5aa, v75, -v71
	;; [unrolled: 1-line block ×5, first 2 shown]
	v_fmamk_f32 v32, v52, 0xbf955555, v42
	v_mul_f32_e32 v55, 0x3f4a47b2, v55
	v_fmac_f32_e32 v68, 0x3ee1c552, v44
	s_delay_alu instid0(VALU_DEP_4) | instskip(SKIP_1) | instid1(VALU_DEP_4)
	v_dual_add_f32 v41, v35, v64 :: v_dual_fmac_f32 v74, 0x3ee1c552, v33
	v_fma_f32 v46, 0x3f3bfb3b, v76, -v78
	v_fmamk_f32 v35, v57, 0x3d64c772, v55
	v_fma_f32 v54, 0xbf3bfb3b, v76, -v54
	v_fma_f32 v76, 0xbeae86e6, v45, -v82
	v_dual_fmac_f32 v69, 0x3ee1c552, v66 :: v_dual_fmac_f32 v72, 0x3ee1c552, v44
	v_fmac_f32_e32 v70, 0x3ee1c552, v44
	v_fmamk_f32 v44, v63, 0xbf955555, v40
	v_mul_f32_e32 v79, 0x3d64c772, v57
	v_fmamk_f32 v57, v45, 0x3eae86e6, v80
	v_fmamk_f32 v45, v64, 0xbf955555, v41
	v_mul_f32_e32 v81, 0xbf08b237, v81
	v_dual_fmac_f32 v76, 0x3ee1c552, v33 :: v_dual_add_f32 v63, v34, v44
	s_delay_alu instid0(VALU_DEP_4)
	v_fmac_f32_e32 v57, 0x3ee1c552, v33
	v_add_f32_e32 v33, v38, v32
	v_add_f32_e32 v38, v49, v32
	v_dual_add_f32 v32, v51, v32 :: v_dual_mul_f32 v83, 0x3f5ff5aa, v37
	v_fma_f32 v55, 0xbf3bfb3b, v77, -v55
	v_dual_add_f32 v64, v35, v45 :: v_dual_fmac_f32 v67, 0x3ee1c552, v66
	v_add_f32_e32 v34, v46, v44
	v_fma_f32 v56, 0x3f3bfb3b, v77, -v79
	s_delay_alu instid0(VALU_DEP_4) | instskip(SKIP_2) | instid1(VALU_DEP_4)
	v_dual_fmac_f32 v71, 0x3ee1c552, v66 :: v_dual_add_f32 v66, v55, v45
	v_add_f32_e32 v46, v72, v32
	v_fma_f32 v77, 0xbeae86e6, v47, -v83
	v_dual_add_f32 v35, v56, v45 :: v_dual_add_f32 v56, v54, v44
	v_dual_sub_f32 v54, v33, v68 :: v_dual_fmamk_f32 v73, v47, 0x3eae86e6, v81
	v_fma_f32 v75, 0x3f5ff5aa, v37, -v81
	v_dual_fmamk_f32 v37, v53, 0xbf955555, v43 :: v_dual_sub_f32 v52, v32, v72
	v_add_f32_e32 v44, v68, v33
	s_delay_alu instid0(VALU_DEP_3) | instskip(SKIP_1) | instid1(VALU_DEP_4)
	v_dual_add_f32 v78, v76, v66 :: v_dual_fmac_f32 v75, 0x3ee1c552, v36
	v_fmac_f32_e32 v73, 0x3ee1c552, v36
	v_dual_fmac_f32 v77, 0x3ee1c552, v36 :: v_dual_add_f32 v36, v39, v37
	v_add_f32_e32 v33, v74, v35
	s_delay_alu instid0(VALU_DEP_4) | instskip(SKIP_1) | instid1(VALU_DEP_4)
	v_sub_f32_e32 v32, v34, v75
	v_dual_add_f32 v34, v75, v34 :: v_dual_add_f32 v39, v50, v37
	v_sub_f32_e32 v45, v36, v67
	v_dual_add_f32 v55, v67, v36 :: v_dual_add_f32 v36, v73, v63
	v_dual_add_f32 v37, v48, v37 :: v_dual_sub_f32 v48, v38, v70
	v_add_f32_e32 v50, v70, v38
	v_add_f32_e32 v38, v77, v56
	;; [unrolled: 1-line block ×3, first 2 shown]
	v_sub_f32_e32 v51, v39, v69
	v_sub_f32_e32 v39, v66, v76
	v_add_f32_e32 v76, v57, v64
	v_sub_f32_e32 v47, v37, v71
	v_add_f32_e32 v53, v71, v37
	v_sub_f32_e32 v37, v64, v57
	v_sub_f32_e32 v35, v35, v74
	;; [unrolled: 1-line block ×4, first 2 shown]
	ds_store_2addr_b64 v94, v[42:43], v[44:45] offset1:52
	ds_store_2addr_b64 v94, v[46:47], v[48:49] offset0:104 offset1:156
	ds_store_2addr_b64 v65, v[50:51], v[52:53] offset0:80 offset1:132
	ds_store_b64 v94, v[54:55] offset:2496
	s_and_saveexec_b32 s1, s0
	s_cbranch_execz .LBB0_11
; %bb.10:
	v_lshlrev_b32_e32 v42, 3, v91
	s_delay_alu instid0(VALU_DEP_1)
	v_add_nc_u32_e32 v43, 0x2000, v42
	v_add_nc_u32_e32 v44, 0x2800, v42
	ds_store_2addr_b64 v43, v[40:41], v[36:37] offset0:68 offset1:120
	ds_store_2addr_b64 v43, v[38:39], v[32:33] offset0:172 offset1:224
	;; [unrolled: 1-line block ×3, first 2 shown]
	ds_store_b64 v42, v[75:76] offset:11232
.LBB0_11:
	s_wait_alu 0xfffe
	s_or_b32 exec_lo, exec_lo, s1
	global_wb scope:SCOPE_SE
	s_wait_dscnt 0x0
	s_barrier_signal -1
	s_barrier_wait -1
	global_inv scope:SCOPE_SE
	s_clause 0x1
	global_load_b64 v[63:64], v88, s[2:3] offset:2808
	global_load_b64 v[65:66], v88, s[2:3] offset:4264
	v_add_nc_u32_e32 v56, 0x1600, v88
	v_add_nc_u32_e32 v57, 0x2000, v88
	ds_load_2addr_b64 v[40:43], v56 offset0:24 offset1:206
	ds_load_2addr_b64 v[44:47], v57 offset0:68 offset1:250
	v_add_nc_u32_e32 v95, 0xa00, v88
	s_wait_loadcnt_dscnt 0x0
	v_dual_mul_f32 v68, v40, v64 :: v_dual_mul_f32 v73, v47, v66
	v_mul_f32_e32 v74, v46, v66
	ds_load_2addr_b64 v[48:51], v88 offset1:182
	ds_load_2addr_b64 v[52:55], v95 offset0:44 offset1:226
	v_dual_mul_f32 v70, v42, v66 :: v_dual_mul_f32 v67, v41, v64
	v_mul_f32_e32 v69, v43, v66
	v_dual_mul_f32 v71, v45, v64 :: v_dual_fmac_f32 v74, v47, v65
	s_delay_alu instid0(VALU_DEP_3)
	v_fmac_f32_e32 v70, v43, v65
	v_mul_f32_e32 v72, v44, v64
	v_fma_f32 v40, v40, v63, -v67
	v_fmac_f32_e32 v68, v41, v63
	v_fma_f32 v42, v42, v65, -v69
	v_fma_f32 v44, v44, v63, -v71
	;; [unrolled: 1-line block ×3, first 2 shown]
	global_wb scope:SCOPE_SE
	s_wait_dscnt 0x0
	s_barrier_signal -1
	s_barrier_wait -1
	global_inv scope:SCOPE_SE
	v_sub_f32_e32 v43, v51, v70
	v_dual_sub_f32 v47, v55, v74 :: v_dual_fmac_f32 v72, v45, v63
	v_sub_f32_e32 v40, v48, v40
	v_dual_sub_f32 v41, v49, v68 :: v_dual_sub_f32 v42, v50, v42
	v_sub_f32_e32 v44, v52, v44
	s_delay_alu instid0(VALU_DEP_4) | instskip(NEXT) | instid1(VALU_DEP_4)
	v_dual_sub_f32 v45, v53, v72 :: v_dual_sub_f32 v46, v54, v46
	v_fma_f32 v48, v48, 2.0, -v40
	s_delay_alu instid0(VALU_DEP_4)
	v_fma_f32 v49, v49, 2.0, -v41
	v_fma_f32 v50, v50, 2.0, -v42
	;; [unrolled: 1-line block ×7, first 2 shown]
	ds_store_2addr_b64 v95, v[40:41], v[42:43] offset0:44 offset1:226
	ds_store_2addr_b64 v57, v[44:45], v[46:47] offset0:68 offset1:250
	ds_store_2addr_b64 v88, v[48:49], v[50:51] offset1:182
	ds_store_2addr_b64 v56, v[52:53], v[54:55] offset0:24 offset1:206
	global_wb scope:SCOPE_SE
	s_wait_dscnt 0x0
	s_barrier_signal -1
	s_barrier_wait -1
	global_inv scope:SCOPE_SE
	s_clause 0x3
	global_load_b64 v[67:68], v88, s[2:3] offset:5720
	global_load_b64 v[69:70], v88, s[2:3] offset:7176
	global_load_b64 v[73:74], v88, s[2:3] offset:8632
	global_load_b64 v[71:72], v88, s[2:3] offset:10088
	ds_load_2addr_b64 v[40:43], v56 offset0:24 offset1:206
	ds_load_2addr_b64 v[44:47], v57 offset0:68 offset1:250
	ds_load_2addr_b64 v[79:82], v88 offset1:182
	ds_load_2addr_b64 v[83:86], v95 offset0:44 offset1:226
	s_wait_loadcnt_dscnt 0x303
	v_mul_f32_e32 v48, v41, v68
	v_mul_f32_e32 v49, v40, v68
	s_wait_loadcnt_dscnt 0x102
	v_mul_f32_e32 v53, v44, v74
	v_mul_f32_e32 v51, v42, v70
	;; [unrolled: 1-line block ×4, first 2 shown]
	v_fma_f32 v40, v40, v67, -v48
	v_fmac_f32_e32 v49, v41, v67
	v_fmac_f32_e32 v51, v43, v69
	s_wait_loadcnt 0x0
	v_dual_mul_f32 v54, v47, v72 :: v_dual_fmac_f32 v53, v45, v73
	v_mul_f32_e32 v96, v46, v72
	v_fma_f32 v41, v42, v69, -v50
	v_fma_f32 v44, v44, v73, -v52
	s_wait_dscnt 0x1
	v_dual_sub_f32 v42, v79, v40 :: v_dual_sub_f32 v55, v82, v51
	v_sub_f32_e32 v43, v80, v49
	v_fma_f32 v45, v46, v71, -v54
	s_wait_dscnt 0x0
	v_dual_sub_f32 v51, v84, v53 :: v_dual_fmac_f32 v96, v47, v71
	v_sub_f32_e32 v54, v81, v41
	v_sub_f32_e32 v50, v83, v44
	;; [unrolled: 1-line block ×3, first 2 shown]
	v_fma_f32 v40, v79, 2.0, -v42
	v_sub_f32_e32 v47, v86, v96
	v_fma_f32 v41, v80, 2.0, -v43
	v_fma_f32 v52, v81, 2.0, -v54
	;; [unrolled: 1-line block ×7, first 2 shown]
	ds_store_2addr_b64 v56, v[42:43], v[54:55] offset0:24 offset1:206
	ds_store_2addr_b64 v57, v[50:51], v[46:47] offset0:68 offset1:250
	ds_store_2addr_b64 v88, v[40:41], v[52:53] offset1:182
	ds_store_2addr_b64 v95, v[48:49], v[44:45] offset0:44 offset1:226
	global_wb scope:SCOPE_SE
	s_wait_dscnt 0x0
	s_barrier_signal -1
	s_barrier_wait -1
	global_inv scope:SCOPE_SE
	s_and_saveexec_b32 s1, vcc_lo
	s_cbranch_execz .LBB0_13
; %bb.12:
	global_load_b64 v[56:57], v88, s[12:13] offset:11648
	s_add_nc_u64 s[2:3], s[12:13], 0x2d80
	s_clause 0xb
	global_load_b64 v[111:112], v88, s[2:3] offset:896
	global_load_b64 v[113:114], v88, s[2:3] offset:1792
	;; [unrolled: 1-line block ×12, first 2 shown]
	ds_load_b64 v[79:80], v88
	v_add_nc_u32_e32 v135, 0x800, v88
	s_wait_loadcnt_dscnt 0xc00
	v_dual_mul_f32 v81, v80, v57 :: v_dual_add_nc_u32 v136, 0x1000, v88
	v_mul_f32_e32 v82, v79, v57
	s_delay_alu instid0(VALU_DEP_2) | instskip(NEXT) | instid1(VALU_DEP_2)
	v_fma_f32 v81, v79, v56, -v81
	v_fmac_f32_e32 v82, v80, v56
	ds_store_b64 v88, v[81:82]
	ds_load_2addr_b64 v[79:82], v88 offset0:112 offset1:224
	ds_load_2addr_b64 v[83:86], v135 offset0:80 offset1:192
	v_add_nc_u32_e32 v137, 0x1800, v88
	v_add_nc_u32_e32 v139, 0x2400, v88
	ds_load_2addr_b64 v[95:98], v136 offset0:48 offset1:160
	s_wait_loadcnt_dscnt 0x801
	v_dual_mul_f32 v57, v79, v112 :: v_dual_mul_f32 v142, v86, v118
	v_add_nc_u32_e32 v138, 0x1c00, v88
	v_mul_f32_e32 v140, v82, v114
	ds_load_2addr_b64 v[99:102], v137 offset0:16 offset1:128
	v_fmac_f32_e32 v57, v80, v111
	v_mul_f32_e32 v56, v80, v112
	v_mul_f32_e32 v112, v81, v114
	ds_load_2addr_b64 v[103:106], v138 offset0:112 offset1:224
	ds_load_2addr_b64 v[107:110], v139 offset0:80 offset1:192
	v_mul_f32_e32 v141, v84, v116
	v_mul_f32_e32 v114, v83, v116
	s_wait_loadcnt_dscnt 0x703
	v_dual_mul_f32 v116, v85, v118 :: v_dual_mul_f32 v143, v96, v120
	s_wait_loadcnt 0x6
	v_mul_f32_e32 v144, v98, v122
	v_mul_f32_e32 v118, v95, v120
	;; [unrolled: 1-line block ×3, first 2 shown]
	v_fma_f32 v56, v79, v111, -v56
	v_fma_f32 v111, v81, v113, -v140
	v_fmac_f32_e32 v112, v82, v113
	v_fma_f32 v113, v83, v115, -v141
	v_fmac_f32_e32 v114, v84, v115
	;; [unrolled: 2-line block ×3, first 2 shown]
	v_fma_f32 v117, v95, v119, -v143
	s_wait_loadcnt_dscnt 0x502
	v_mul_f32_e32 v145, v100, v124
	v_mul_f32_e32 v122, v99, v124
	s_wait_loadcnt_dscnt 0x301
	v_dual_mul_f32 v146, v102, v126 :: v_dual_mul_f32 v147, v104, v128
	s_wait_loadcnt_dscnt 0x100
	v_dual_mul_f32 v124, v101, v126 :: v_dual_mul_f32 v149, v108, v132
	v_mul_f32_e32 v126, v103, v128
	v_mul_f32_e32 v148, v106, v130
	;; [unrolled: 1-line block ×4, first 2 shown]
	s_wait_loadcnt 0x0
	v_mul_f32_e32 v150, v110, v134
	v_mul_f32_e32 v132, v109, v134
	v_fmac_f32_e32 v118, v96, v119
	v_fma_f32 v119, v97, v121, -v144
	v_fmac_f32_e32 v120, v98, v121
	v_fma_f32 v121, v99, v123, -v145
	;; [unrolled: 2-line block ×7, first 2 shown]
	v_fmac_f32_e32 v132, v110, v133
	ds_store_2addr_b64 v88, v[56:57], v[111:112] offset0:112 offset1:224
	ds_store_2addr_b64 v135, v[113:114], v[115:116] offset0:80 offset1:192
	;; [unrolled: 1-line block ×6, first 2 shown]
.LBB0_13:
	s_wait_alu 0xfffe
	s_or_b32 exec_lo, exec_lo, s1
	global_wb scope:SCOPE_SE
	s_wait_dscnt 0x0
	s_barrier_signal -1
	s_barrier_wait -1
	global_inv scope:SCOPE_SE
	s_and_saveexec_b32 s1, vcc_lo
	s_cbranch_execz .LBB0_15
; %bb.14:
	v_add_nc_u32_e32 v32, 0x400, v88
	v_add_nc_u32_e32 v33, 0xc00, v88
	v_add_nc_u32_e32 v34, 0x1400, v88
	v_add_nc_u32_e32 v35, 0x1800, v88
	v_add_nc_u32_e32 v56, 0x2000, v88
	ds_load_2addr_b64 v[40:43], v88 offset1:112
	ds_load_2addr_b64 v[52:55], v32 offset0:96 offset1:208
	ds_load_2addr_b64 v[48:51], v33 offset0:64 offset1:176
	;; [unrolled: 1-line block ×5, first 2 shown]
	ds_load_b64 v[77:78], v88 offset:10752
.LBB0_15:
	s_wait_alu 0xfffe
	s_or_b32 exec_lo, exec_lo, s1
	s_wait_dscnt 0x0
	v_dual_sub_f32 v136, v43, v78 :: v_dual_sub_f32 v145, v42, v77
	v_add_f32_e32 v130, v78, v43
	v_add_f32_e32 v120, v77, v42
	v_dual_sub_f32 v148, v53, v35 :: v_dual_add_f32 v129, v34, v52
	s_delay_alu instid0(VALU_DEP_4) | instskip(SKIP_2) | instid1(VALU_DEP_4)
	v_mul_f32_e32 v99, 0xbf52af12, v136
	v_mul_f32_e32 v95, 0xbeedf032, v136
	;; [unrolled: 1-line block ×3, first 2 shown]
	v_dual_add_f32 v142, v35, v53 :: v_dual_mul_f32 v97, 0xbf52af12, v148
	s_delay_alu instid0(VALU_DEP_4) | instskip(SKIP_4) | instid1(VALU_DEP_4)
	v_fma_f32 v79, 0x3f116cb1, v120, -v99
	v_mul_f32_e32 v102, 0x3f116cb1, v130
	v_fma_f32 v56, 0x3f62ad3f, v120, -v95
	v_fmamk_f32 v57, v145, 0xbeedf032, v96
	v_dual_mul_f32 v118, 0x3f29c268, v148 :: v_dual_add_f32 v153, v33, v55
	v_dual_add_f32 v79, v40, v79 :: v_dual_fmamk_f32 v80, v145, 0xbf52af12, v102
	s_delay_alu instid0(VALU_DEP_4) | instskip(NEXT) | instid1(VALU_DEP_4)
	v_dual_mul_f32 v107, 0x3df6dbef, v130 :: v_dual_add_f32 v56, v40, v56
	v_dual_add_f32 v57, v41, v57 :: v_dual_sub_f32 v154, v52, v34
	s_delay_alu instid0(VALU_DEP_3) | instskip(NEXT) | instid1(VALU_DEP_3)
	v_add_f32_e32 v80, v41, v80
	v_dual_mul_f32 v103, 0xbf7e222b, v136 :: v_dual_fmamk_f32 v82, v145, 0xbf7e222b, v107
	v_mul_f32_e32 v121, 0xbf29c268, v136
	v_fma_f32 v106, 0xbf3f9e67, v129, -v118
	v_mul_f32_e32 v104, 0xbf6f5d39, v148
	s_delay_alu instid0(VALU_DEP_4) | instskip(SKIP_3) | instid1(VALU_DEP_4)
	v_fma_f32 v81, 0x3df6dbef, v120, -v103
	v_mul_f32_e32 v114, 0xbeb58ec6, v130
	v_add_f32_e32 v82, v41, v82
	v_fma_f32 v85, 0xbf3f9e67, v120, -v121
	v_dual_mul_f32 v98, 0x3f116cb1, v142 :: v_dual_add_f32 v81, v40, v81
	s_delay_alu instid0(VALU_DEP_4) | instskip(SKIP_1) | instid1(VALU_DEP_4)
	v_dual_mul_f32 v109, 0xbf6f5d39, v136 :: v_dual_fmamk_f32 v84, v145, 0xbf6f5d39, v114
	v_mul_f32_e32 v131, 0xbf3f9e67, v130
	v_add_f32_e32 v85, v40, v85
	v_fma_f32 v105, 0xbeb58ec6, v129, -v104
	s_delay_alu instid0(VALU_DEP_4) | instskip(SKIP_3) | instid1(VALU_DEP_4)
	v_fma_f32 v83, 0xbeb58ec6, v120, -v109
	v_add_f32_e32 v84, v41, v84
	v_dual_mul_f32 v116, 0xbf788fa5, v142 :: v_dual_sub_f32 v157, v55, v33
	v_fma_f32 v100, 0x3f116cb1, v129, -v97
	v_dual_add_f32 v83, v40, v83 :: v_dual_fmamk_f32 v86, v145, 0xbf29c268, v131
	v_add_f32_e32 v79, v105, v79
	s_delay_alu instid0(VALU_DEP_3) | instskip(NEXT) | instid1(VALU_DEP_3)
	v_dual_mul_f32 v125, 0xbf3f9e67, v142 :: v_dual_add_f32 v56, v100, v56
	v_add_f32_e32 v83, v106, v83
	s_delay_alu instid0(VALU_DEP_4) | instskip(SKIP_2) | instid1(VALU_DEP_3)
	v_dual_fmamk_f32 v101, v154, 0xbf52af12, v98 :: v_dual_add_f32 v86, v41, v86
	v_dual_mul_f32 v134, 0x3f62ad3f, v153 :: v_dual_sub_f32 v165, v49, v39
	v_mul_f32_e32 v133, 0x3f7e222b, v148
	v_dual_add_f32 v57, v101, v57 :: v_dual_mul_f32 v110, 0xbe750f2a, v148
	v_fmamk_f32 v105, v154, 0xbe750f2a, v116
	v_dual_mul_f32 v150, 0x3f116cb1, v153 :: v_dual_add_f32 v149, v38, v48
	v_add_f32_e32 v139, v32, v54
	s_delay_alu instid0(VALU_DEP_4) | instskip(SKIP_4) | instid1(VALU_DEP_4)
	v_fma_f32 v101, 0xbf788fa5, v129, -v110
	v_mul_f32_e32 v108, 0xbeb58ec6, v142
	v_add_f32_e32 v82, v105, v82
	v_fma_f32 v105, 0x3df6dbef, v129, -v133
	v_sub_f32_e32 v175, v50, v36
	v_dual_add_f32 v81, v101, v81 :: v_dual_fmamk_f32 v100, v154, 0xbf6f5d39, v108
	v_mul_f32_e32 v101, 0x3df6dbef, v153
	s_delay_alu instid0(VALU_DEP_4)
	v_add_f32_e32 v85, v105, v85
	v_mul_f32_e32 v111, 0xbe750f2a, v157
	global_wb scope:SCOPE_SE
	v_add_f32_e32 v80, v100, v80
	v_fmamk_f32 v100, v154, 0x3f29c268, v125
	s_barrier_signal -1
	v_fma_f32 v115, 0xbf788fa5, v139, -v111
	v_sub_f32_e32 v164, v54, v32
	v_mul_f32_e32 v132, 0x3eedf032, v157
	v_add_f32_e32 v84, v100, v84
	s_barrier_wait -1
	v_dual_add_f32 v79, v115, v79 :: v_dual_mul_f32 v100, 0xbf7e222b, v157
	v_fmamk_f32 v113, v164, 0xbf7e222b, v101
	v_mul_f32_e32 v140, 0x3df6dbef, v142
	v_dual_fmamk_f32 v115, v164, 0x3eedf032, v134 :: v_dual_add_f32 v162, v39, v49
	s_delay_alu instid0(VALU_DEP_4) | instskip(NEXT) | instid1(VALU_DEP_4)
	v_fma_f32 v106, 0x3df6dbef, v139, -v100
	v_add_f32_e32 v57, v113, v57
	s_delay_alu instid0(VALU_DEP_3)
	v_dual_fmamk_f32 v105, v154, 0x3f7e222b, v140 :: v_dual_add_f32 v84, v115, v84
	v_fma_f32 v113, 0x3f62ad3f, v139, -v132
	v_mul_f32_e32 v112, 0xbf788fa5, v153
	v_dual_add_f32 v56, v106, v56 :: v_dual_mul_f32 v117, 0x3f6f5d39, v157
	global_inv scope:SCOPE_SE
	v_add_f32_e32 v83, v113, v83
	v_dual_add_f32 v86, v105, v86 :: v_dual_fmamk_f32 v105, v164, 0xbe750f2a, v112
	v_mul_f32_e32 v127, 0xbeb58ec6, v153
	v_fmamk_f32 v113, v164, 0xbf52af12, v150
	v_dual_mul_f32 v119, 0x3f29c268, v165 :: v_dual_sub_f32 v170, v48, v38
	s_delay_alu instid0(VALU_DEP_4) | instskip(SKIP_1) | instid1(VALU_DEP_4)
	v_add_f32_e32 v80, v105, v80
	v_fma_f32 v105, 0xbeb58ec6, v139, -v117
	v_add_f32_e32 v86, v113, v86
	v_fmamk_f32 v106, v164, 0x3f6f5d39, v127
	v_fma_f32 v113, 0xbf3f9e67, v149, -v119
	v_mul_f32_e32 v128, 0x3eedf032, v165
	v_add_f32_e32 v81, v105, v81
	s_delay_alu instid0(VALU_DEP_4) | instskip(NEXT) | instid1(VALU_DEP_4)
	v_dual_mul_f32 v147, 0xbf52af12, v157 :: v_dual_add_f32 v82, v106, v82
	v_dual_mul_f32 v106, 0xbeb58ec6, v162 :: v_dual_add_f32 v79, v113, v79
	s_delay_alu instid0(VALU_DEP_4) | instskip(NEXT) | instid1(VALU_DEP_3)
	v_fma_f32 v113, 0x3f62ad3f, v149, -v128
	v_fma_f32 v105, 0x3f116cb1, v139, -v147
	v_mul_f32_e32 v146, 0x3df6dbef, v162
	s_delay_alu instid0(VALU_DEP_4) | instskip(NEXT) | instid1(VALU_DEP_4)
	v_dual_fmamk_f32 v122, v170, 0xbf6f5d39, v106 :: v_dual_sub_f32 v173, v51, v37
	v_add_f32_e32 v81, v113, v81
	s_delay_alu instid0(VALU_DEP_4) | instskip(SKIP_4) | instid1(VALU_DEP_4)
	v_add_f32_e32 v85, v105, v85
	v_mul_f32_e32 v105, 0xbf6f5d39, v165
	v_dual_mul_f32 v144, 0xbf7e222b, v165 :: v_dual_fmamk_f32 v113, v170, 0xbf7e222b, v146
	v_add_f32_e32 v161, v36, v50
	v_add_f32_e32 v57, v122, v57
	v_fma_f32 v115, 0xbeb58ec6, v149, -v105
	s_delay_alu instid0(VALU_DEP_4) | instskip(SKIP_1) | instid1(VALU_DEP_3)
	v_dual_mul_f32 v123, 0xbf3f9e67, v162 :: v_dual_add_f32 v84, v113, v84
	v_mul_f32_e32 v113, 0xbf29c268, v173
	v_dual_add_f32 v171, v37, v51 :: v_dual_add_f32 v56, v115, v56
	s_delay_alu instid0(VALU_DEP_3) | instskip(SKIP_1) | instid1(VALU_DEP_4)
	v_fmamk_f32 v115, v170, 0x3f29c268, v123
	v_mul_f32_e32 v141, 0x3f62ad3f, v162
	v_fma_f32 v124, 0xbf3f9e67, v161, -v113
	v_fma_f32 v122, 0x3df6dbef, v149, -v144
	v_mul_f32_e32 v156, 0x3e750f2a, v165
	s_delay_alu instid0(VALU_DEP_4) | instskip(NEXT) | instid1(VALU_DEP_4)
	v_dual_add_f32 v80, v115, v80 :: v_dual_fmamk_f32 v115, v170, 0x3eedf032, v141
	v_dual_add_f32 v56, v124, v56 :: v_dual_mul_f32 v137, 0x3df6dbef, v171
	s_delay_alu instid0(VALU_DEP_4) | instskip(NEXT) | instid1(VALU_DEP_3)
	v_dual_add_f32 v176, v47, v45 :: v_dual_add_f32 v83, v122, v83
	v_add_f32_e32 v82, v115, v82
	v_fma_f32 v115, 0xbf788fa5, v149, -v156
	v_mul_f32_e32 v158, 0xbf788fa5, v171
	v_fmamk_f32 v124, v175, 0x3f7e222b, v137
	v_mul_f32_e32 v159, 0xbf788fa5, v162
	v_dual_mul_f32 v151, 0x3f116cb1, v171 :: v_dual_sub_f32 v178, v44, v46
	s_delay_alu instid0(VALU_DEP_3) | instskip(NEXT) | instid1(VALU_DEP_3)
	v_dual_sub_f32 v177, v45, v47 :: v_dual_add_f32 v80, v124, v80
	v_dual_fmamk_f32 v122, v170, 0x3e750f2a, v159 :: v_dual_add_f32 v85, v115, v85
	v_mul_f32_e32 v115, 0xbf3f9e67, v171
	v_mul_f32_e32 v155, 0x3e750f2a, v173
	;; [unrolled: 1-line block ×3, first 2 shown]
	s_delay_alu instid0(VALU_DEP_4)
	v_add_f32_e32 v86, v122, v86
	v_mul_f32_e32 v122, 0x3f7e222b, v173
	v_fmamk_f32 v126, v175, 0xbf29c268, v115
	v_mul_f32_e32 v143, 0xbf52af12, v173
	v_mul_f32_e32 v168, 0x3f62ad3f, v171
	;; [unrolled: 1-line block ×3, first 2 shown]
	v_fma_f32 v135, 0x3df6dbef, v161, -v122
	v_add_f32_e32 v57, v126, v57
	v_fma_f32 v126, 0x3f116cb1, v161, -v143
	s_delay_alu instid0(VALU_DEP_3) | instskip(NEXT) | instid1(VALU_DEP_2)
	v_add_f32_e32 v79, v135, v79
	v_add_f32_e32 v163, v126, v81
	v_fmamk_f32 v81, v175, 0xbf52af12, v151
	v_fmamk_f32 v126, v175, 0x3e750f2a, v158
	v_fma_f32 v124, 0xbf788fa5, v161, -v155
	s_delay_alu instid0(VALU_DEP_3) | instskip(SKIP_1) | instid1(VALU_DEP_4)
	v_dual_add_f32 v179, v81, v82 :: v_dual_fmamk_f32 v82, v175, 0x3eedf032, v168
	v_fma_f32 v81, 0x3f62ad3f, v161, -v166
	v_add_f32_e32 v84, v126, v84
	s_delay_alu instid0(VALU_DEP_4) | instskip(SKIP_4) | instid1(VALU_DEP_4)
	v_dual_mul_f32 v126, 0xbf788fa5, v176 :: v_dual_add_f32 v83, v124, v83
	v_dual_mul_f32 v124, 0xbe750f2a, v177 :: v_dual_add_f32 v169, v46, v44
	v_mul_f32_e32 v152, 0xbf29c268, v177
	v_dual_add_f32 v85, v81, v85 :: v_dual_add_f32 v86, v82, v86
	v_fmamk_f32 v167, v178, 0x3eedf032, v138
	v_fma_f32 v81, 0xbf788fa5, v169, -v124
	v_mul_f32_e32 v135, 0x3eedf032, v177
	v_fma_f32 v172, 0xbf3f9e67, v169, -v152
	v_mul_f32_e32 v174, 0xbeb58ec6, v176
	s_delay_alu instid0(VALU_DEP_4) | instskip(NEXT) | instid1(VALU_DEP_4)
	v_add_f32_e32 v56, v81, v56
	v_fma_f32 v160, 0x3f62ad3f, v169, -v135
	v_fmamk_f32 v82, v178, 0xbe750f2a, v126
	s_delay_alu instid0(VALU_DEP_4) | instskip(NEXT) | instid1(VALU_DEP_3)
	v_fmamk_f32 v183, v178, 0xbf6f5d39, v174
	v_add_f32_e32 v81, v160, v79
	s_delay_alu instid0(VALU_DEP_3) | instskip(SKIP_1) | instid1(VALU_DEP_4)
	v_dual_add_f32 v57, v82, v57 :: v_dual_add_f32 v82, v167, v80
	v_dual_mul_f32 v160, 0xbf3f9e67, v176 :: v_dual_add_f32 v79, v172, v163
	v_dual_mul_f32 v163, 0x3f52af12, v177 :: v_dual_add_f32 v86, v183, v86
	v_mul_f32_e32 v167, 0x3f116cb1, v176
	v_mul_f32_e32 v172, 0xbf6f5d39, v177
	s_delay_alu instid0(VALU_DEP_4) | instskip(NEXT) | instid1(VALU_DEP_4)
	v_fmamk_f32 v80, v178, 0xbf29c268, v160
	v_fma_f32 v180, 0x3f116cb1, v169, -v163
	s_delay_alu instid0(VALU_DEP_4) | instskip(NEXT) | instid1(VALU_DEP_4)
	v_fmamk_f32 v181, v178, 0x3f52af12, v167
	v_fma_f32 v182, 0xbeb58ec6, v169, -v172
	s_delay_alu instid0(VALU_DEP_4) | instskip(NEXT) | instid1(VALU_DEP_3)
	v_add_f32_e32 v80, v80, v179
	v_dual_add_f32 v83, v180, v83 :: v_dual_add_f32 v84, v181, v84
	s_delay_alu instid0(VALU_DEP_3)
	v_add_f32_e32 v85, v182, v85
	s_and_saveexec_b32 s1, vcc_lo
	s_cbranch_execz .LBB0_17
; %bb.16:
	v_mul_f32_e32 v136, 0xbe750f2a, v136
	v_mul_f32_e32 v148, 0x3eedf032, v148
	;; [unrolled: 1-line block ×4, first 2 shown]
	v_dual_mul_f32 v186, 0xbf6f5d39, v145 :: v_dual_mul_f32 v241, 0xbf6f5d39, v178
	v_fma_f32 v240, 0xbf788fa5, v120, -v136
	v_dual_mul_f32 v188, 0xbf29c268, v145 :: v_dual_mul_f32 v235, 0xbf29c268, v178
	v_mul_f32_e32 v194, 0xbe750f2a, v154
	s_delay_alu instid0(VALU_DEP_3)
	v_dual_mul_f32 v199, 0x3df6dbef, v139 :: v_dual_add_f32 v240, v40, v240
	v_fma_f32 v242, 0x3f62ad3f, v129, -v148
	v_mul_f32_e32 v180, 0xbeedf032, v145
	v_mul_f32_e32 v145, 0xbe750f2a, v145
	v_dual_mul_f32 v187, 0xbf3f9e67, v120 :: v_dual_mul_f32 v234, 0xbf3f9e67, v169
	v_mul_f32_e32 v190, 0xbf52af12, v154
	v_mul_f32_e32 v192, 0xbf6f5d39, v154
	s_delay_alu instid0(VALU_DEP_4)
	v_dual_mul_f32 v193, 0xbf788fa5, v129 :: v_dual_fmamk_f32 v232, v130, 0xbf788fa5, v145
	v_mul_f32_e32 v196, 0x3f29c268, v154
	v_dual_mul_f32 v198, 0x3f7e222b, v154 :: v_dual_mul_f32 v177, 0x3f7e222b, v177
	v_dual_mul_f32 v217, 0xbf788fa5, v149 :: v_dual_fmac_f32 v136, 0xbf788fa5, v120
	v_mul_f32_e32 v154, 0x3eedf032, v154
	v_mul_f32_e32 v179, 0x3f62ad3f, v120
	v_dual_mul_f32 v189, 0x3f116cb1, v129 :: v_dual_add_f32 v232, v41, v232
	v_dual_mul_f32 v200, 0xbf7e222b, v164 :: v_dual_add_f32 v121, v187, v121
	v_mul_f32_e32 v204, 0x3f6f5d39, v164
	v_dual_mul_f32 v206, 0x3eedf032, v164 :: v_dual_mul_f32 v233, 0x3eedf032, v178
	v_mul_f32_e32 v208, 0xbf52af12, v164
	v_dual_mul_f32 v223, 0x3f116cb1, v161 :: v_dual_sub_f32 v140, v140, v198
	v_mul_f32_e32 v202, 0xbe750f2a, v164
	v_fmamk_f32 v236, v142, 0x3f62ad3f, v154
	v_mul_f32_e32 v164, 0xbf29c268, v164
	v_fma_f32 v130, 0xbf788fa5, v130, -v145
	v_mul_f32_e32 v183, 0x3df6dbef, v120
	s_delay_alu instid0(VALU_DEP_4) | instskip(NEXT) | instid1(VALU_DEP_4)
	v_dual_mul_f32 v191, 0xbeb58ec6, v129 :: v_dual_add_f32 v232, v236, v232
	v_dual_mul_f32 v195, 0xbf3f9e67, v129 :: v_dual_fmamk_f32 v236, v153, 0xbf3f9e67, v164
	s_delay_alu instid0(VALU_DEP_4)
	v_dual_mul_f32 v197, 0x3df6dbef, v129 :: v_dual_add_f32 v130, v41, v130
	v_fma_f32 v142, 0x3f62ad3f, v142, -v154
	v_mul_f32_e32 v203, 0xbeb58ec6, v139
	v_dual_mul_f32 v210, 0xbf6f5d39, v170 :: v_dual_mul_f32 v173, 0xbf6f5d39, v173
	v_mul_f32_e32 v212, 0x3f29c268, v170
	v_mul_f32_e32 v216, 0xbf7e222b, v170
	v_add_f32_e32 v232, v236, v232
	v_add_f32_e32 v130, v142, v130
	v_fma_f32 v142, 0xbf3f9e67, v153, -v164
	v_add_f32_e32 v121, v40, v121
	v_dual_add_f32 v133, v197, v133 :: v_dual_mul_f32 v214, 0x3eedf032, v170
	v_mul_f32_e32 v218, 0x3e750f2a, v170
	v_mul_f32_e32 v170, 0x3f52af12, v170
	v_dual_mul_f32 v205, 0x3f62ad3f, v139 :: v_dual_add_f32 v130, v142, v130
	v_mul_f32_e32 v145, 0xbf6f5d39, v175
	s_delay_alu instid0(VALU_DEP_3) | instskip(SKIP_1) | instid1(VALU_DEP_3)
	v_dual_mul_f32 v181, 0x3f116cb1, v120 :: v_dual_fmamk_f32 v236, v162, 0x3f116cb1, v170
	v_fma_f32 v142, 0x3f116cb1, v162, -v170
	v_dual_mul_f32 v185, 0xbeb58ec6, v120 :: v_dual_fmamk_f32 v154, v171, 0xbeb58ec6, v145
	v_mul_f32_e32 v209, 0xbeb58ec6, v149
	v_dual_mul_f32 v213, 0x3f62ad3f, v149 :: v_dual_sub_f32 v120, v131, v188
	s_delay_alu instid0(VALU_DEP_3) | instskip(SKIP_4) | instid1(VALU_DEP_3)
	v_dual_mul_f32 v164, 0x3f7e222b, v178 :: v_dual_add_f32 v109, v185, v109
	v_add_f32_e32 v130, v142, v130
	v_fma_f32 v142, 0xbeb58ec6, v171, -v145
	v_dual_mul_f32 v201, 0xbf788fa5, v139 :: v_dual_add_f32 v232, v236, v232
	v_mul_f32_e32 v207, 0x3f116cb1, v139
	v_dual_mul_f32 v219, 0xbf3f9e67, v161 :: v_dual_add_f32 v130, v142, v130
	v_fma_f32 v131, 0x3df6dbef, v176, -v164
	v_dual_fmac_f32 v148, 0x3f62ad3f, v129 :: v_dual_add_f32 v129, v41, v120
	v_dual_mul_f32 v220, 0xbf29c268, v175 :: v_dual_mul_f32 v157, 0xbf29c268, v157
	s_delay_alu instid0(VALU_DEP_3) | instskip(SKIP_1) | instid1(VALU_DEP_4)
	v_dual_mul_f32 v225, 0xbf788fa5, v161 :: v_dual_add_f32 v120, v131, v130
	v_add_f32_e32 v154, v154, v232
	v_dual_mul_f32 v230, 0xbe750f2a, v178 :: v_dual_add_f32 v129, v140, v129
	v_sub_f32_e32 v131, v150, v208
	v_add_f32_e32 v121, v133, v121
	v_add_f32_e32 v133, v207, v147
	v_mul_f32_e32 v222, 0x3f7e222b, v175
	v_mul_f32_e32 v228, 0x3eedf032, v175
	v_dual_mul_f32 v238, 0x3f52af12, v178 :: v_dual_mul_f32 v165, 0x3f52af12, v165
	v_fma_f32 v236, 0xbf3f9e67, v139, -v157
	v_add_f32_e32 v129, v131, v129
	v_dual_sub_f32 v131, v159, v218 :: v_dual_mul_f32 v224, 0xbf52af12, v175
	v_dual_add_f32 v121, v133, v121 :: v_dual_mul_f32 v226, 0x3e750f2a, v175
	v_add_f32_e32 v175, v242, v240
	v_dual_mul_f32 v239, 0xbeb58ec6, v169 :: v_dual_sub_f32 v114, v114, v186
	v_fma_f32 v170, 0x3df6dbef, v169, -v177
	v_dual_mul_f32 v221, 0x3df6dbef, v161 :: v_dual_add_f32 v136, v40, v136
	s_delay_alu instid0(VALU_DEP_4) | instskip(SKIP_4) | instid1(VALU_DEP_4)
	v_add_f32_e32 v175, v236, v175
	v_fma_f32 v236, 0x3f116cb1, v149, -v165
	v_dual_fmac_f32 v165, 0x3f116cb1, v149 :: v_dual_add_f32 v114, v41, v114
	v_fmac_f32_e32 v157, 0xbf3f9e67, v139
	v_add_f32_e32 v129, v131, v129
	v_add_f32_e32 v153, v236, v175
	v_fma_f32 v175, 0xbeb58ec6, v161, -v173
	v_sub_f32_e32 v131, v168, v228
	v_add_f32_e32 v133, v217, v156
	v_dual_fmac_f32 v177, 0x3df6dbef, v169 :: v_dual_add_f32 v118, v195, v118
	s_delay_alu instid0(VALU_DEP_4) | instskip(NEXT) | instid1(VALU_DEP_4)
	v_add_f32_e32 v153, v175, v153
	v_add_f32_e32 v129, v131, v129
	s_delay_alu instid0(VALU_DEP_4)
	v_add_f32_e32 v121, v133, v121
	v_add_f32_e32 v109, v40, v109
	v_dual_mul_f32 v215, 0x3df6dbef, v149 :: v_dual_fmamk_f32 v162, v176, 0x3df6dbef, v164
	v_add_f32_e32 v153, v170, v153
	v_sub_f32_e32 v125, v125, v196
	v_fmac_f32_e32 v173, 0xbeb58ec6, v161
	v_dual_sub_f32 v107, v107, v184 :: v_dual_sub_f32 v116, v116, v194
	v_add_f32_e32 v110, v193, v110
	s_delay_alu instid0(VALU_DEP_4) | instskip(SKIP_4) | instid1(VALU_DEP_4)
	v_add_f32_e32 v114, v125, v114
	v_sub_f32_e32 v125, v134, v206
	v_dual_mul_f32 v227, 0x3f62ad3f, v161 :: v_dual_add_f32 v130, v148, v136
	v_mul_f32_e32 v229, 0xbf788fa5, v169
	v_add_f32_e32 v107, v41, v107
	v_add_f32_e32 v114, v125, v114
	s_delay_alu instid0(VALU_DEP_4) | instskip(SKIP_3) | instid1(VALU_DEP_3)
	v_add_f32_e32 v131, v227, v166
	v_dual_add_f32 v130, v157, v130 :: v_dual_mul_f32 v231, 0x3f62ad3f, v169
	v_sub_f32_e32 v125, v146, v216
	v_add_f32_e32 v109, v118, v109
	v_dual_add_f32 v121, v131, v121 :: v_dual_add_f32 v130, v165, v130
	v_dual_add_f32 v118, v205, v132 :: v_dual_mul_f32 v237, 0x3f116cb1, v169
	v_dual_sub_f32 v102, v102, v182 :: v_dual_add_f32 v99, v181, v99
	v_sub_f32_e32 v112, v112, v202
	s_delay_alu instid0(VALU_DEP_4) | instskip(SKIP_3) | instid1(VALU_DEP_3)
	v_add_f32_e32 v136, v173, v130
	v_sub_f32_e32 v130, v174, v241
	v_dual_add_f32 v109, v118, v109 :: v_dual_add_f32 v118, v215, v144
	v_dual_add_f32 v107, v116, v107 :: v_dual_sub_f32 v116, v127, v204
	v_dual_add_f32 v130, v130, v129 :: v_dual_add_f32 v129, v239, v172
	s_delay_alu instid0(VALU_DEP_3) | instskip(SKIP_4) | instid1(VALU_DEP_3)
	v_dual_add_f32 v109, v118, v109 :: v_dual_add_f32 v118, v225, v155
	v_add_f32_e32 v114, v125, v114
	v_sub_f32_e32 v125, v158, v226
	v_dual_add_f32 v107, v116, v107 :: v_dual_sub_f32 v116, v141, v214
	v_add_f32_e32 v129, v129, v121
	v_dual_add_f32 v121, v183, v103 :: v_dual_add_f32 v114, v125, v114
	v_sub_f32_e32 v125, v167, v238
	s_delay_alu instid0(VALU_DEP_4) | instskip(NEXT) | instid1(VALU_DEP_3)
	v_dual_add_f32 v107, v116, v107 :: v_dual_add_f32 v102, v41, v102
	v_add_f32_e32 v116, v40, v121
	v_add_f32_e32 v99, v40, v99
	s_delay_alu instid0(VALU_DEP_4) | instskip(NEXT) | instid1(VALU_DEP_3)
	v_dual_add_f32 v103, v125, v114 :: v_dual_sub_f32 v114, v151, v224
	v_dual_add_f32 v43, v43, v41 :: v_dual_add_f32 v110, v110, v116
	v_add_f32_e32 v116, v203, v117
	v_dual_mul_f32 v211, 0xbf3f9e67, v149 :: v_dual_add_f32 v154, v162, v154
	s_delay_alu instid0(VALU_DEP_4)
	v_add_f32_e32 v107, v114, v107
	v_sub_f32_e32 v114, v160, v235
	v_sub_f32_e32 v117, v108, v192
	v_add_f32_e32 v43, v53, v43
	v_add_f32_e32 v53, v221, v122
	v_dual_add_f32 v109, v118, v109 :: v_dual_add_f32 v118, v237, v163
	v_dual_add_f32 v108, v114, v107 :: v_dual_add_f32 v107, v116, v110
	v_add_f32_e32 v110, v213, v128
	v_add_f32_e32 v102, v117, v102
	s_delay_alu instid0(VALU_DEP_2) | instskip(SKIP_1) | instid1(VALU_DEP_2)
	v_dual_add_f32 v104, v191, v104 :: v_dual_add_f32 v107, v110, v107
	v_add_f32_e32 v110, v223, v143
	v_add_f32_e32 v99, v104, v99
	;; [unrolled: 1-line block ×3, first 2 shown]
	v_sub_f32_e32 v111, v137, v222
	s_delay_alu instid0(VALU_DEP_4) | instskip(SKIP_1) | instid1(VALU_DEP_4)
	v_dual_add_f32 v102, v112, v102 :: v_dual_add_f32 v107, v110, v107
	v_add_f32_e32 v110, v234, v152
	v_dual_sub_f32 v112, v123, v212 :: v_dual_add_f32 v99, v104, v99
	v_add_f32_e32 v104, v211, v119
	v_add_f32_e32 v42, v42, v40
	s_delay_alu instid0(VALU_DEP_3) | instskip(SKIP_1) | instid1(VALU_DEP_4)
	v_dual_add_f32 v107, v110, v107 :: v_dual_add_f32 v102, v112, v102
	v_add_f32_e32 v119, v177, v136
	v_add_f32_e32 v99, v104, v99
	s_delay_alu instid0(VALU_DEP_4) | instskip(NEXT) | instid1(VALU_DEP_4)
	v_dual_add_f32 v52, v52, v42 :: v_dual_add_f32 v43, v55, v43
	v_add_f32_e32 v102, v111, v102
	v_add_f32_e32 v55, v231, v135
	v_sub_f32_e32 v111, v138, v233
	s_delay_alu instid0(VALU_DEP_4) | instskip(SKIP_2) | instid1(VALU_DEP_4)
	v_add_f32_e32 v52, v54, v52
	v_dual_sub_f32 v54, v96, v180 :: v_dual_add_f32 v43, v49, v43
	v_add_f32_e32 v49, v179, v95
	v_dual_add_f32 v42, v111, v102 :: v_dual_add_f32 v53, v53, v99
	s_delay_alu instid0(VALU_DEP_3) | instskip(NEXT) | instid1(VALU_DEP_4)
	v_dual_add_f32 v48, v48, v52 :: v_dual_add_f32 v41, v41, v54
	v_dual_sub_f32 v52, v98, v190 :: v_dual_add_f32 v43, v51, v43
	s_delay_alu instid0(VALU_DEP_4) | instskip(NEXT) | instid1(VALU_DEP_3)
	v_add_f32_e32 v40, v40, v49
	v_dual_add_f32 v48, v50, v48 :: v_dual_add_f32 v49, v189, v97
	s_delay_alu instid0(VALU_DEP_3) | instskip(NEXT) | instid1(VALU_DEP_2)
	v_dual_add_f32 v102, v118, v109 :: v_dual_add_f32 v43, v45, v43
	v_add_f32_e32 v44, v44, v48
	v_dual_add_f32 v48, v199, v100 :: v_dual_add_f32 v41, v52, v41
	s_delay_alu instid0(VALU_DEP_3) | instskip(NEXT) | instid1(VALU_DEP_3)
	v_dual_add_f32 v40, v49, v40 :: v_dual_add_f32 v43, v47, v43
	v_add_f32_e32 v44, v46, v44
	s_delay_alu instid0(VALU_DEP_2) | instskip(NEXT) | instid1(VALU_DEP_2)
	v_dual_add_f32 v40, v48, v40 :: v_dual_add_f32 v37, v37, v43
	v_dual_add_f32 v36, v36, v44 :: v_dual_add_f32 v43, v209, v105
	v_sub_f32_e32 v44, v115, v220
	v_sub_f32_e32 v45, v101, v200
	s_delay_alu instid0(VALU_DEP_3) | instskip(NEXT) | instid1(VALU_DEP_4)
	v_dual_add_f32 v37, v39, v37 :: v_dual_add_f32 v36, v38, v36
	v_add_f32_e32 v38, v43, v40
	v_add_f32_e32 v39, v219, v113
	s_delay_alu instid0(VALU_DEP_4) | instskip(NEXT) | instid1(VALU_DEP_4)
	v_add_f32_e32 v41, v45, v41
	v_dual_sub_f32 v45, v106, v210 :: v_dual_add_f32 v32, v32, v36
	v_dual_add_f32 v33, v33, v37 :: v_dual_sub_f32 v36, v126, v230
	s_delay_alu instid0(VALU_DEP_4) | instskip(NEXT) | instid1(VALU_DEP_3)
	v_dual_add_f32 v37, v39, v38 :: v_dual_add_f32 v38, v229, v124
	v_dual_add_f32 v41, v45, v41 :: v_dual_add_f32 v34, v34, v32
	s_delay_alu instid0(VALU_DEP_3) | instskip(NEXT) | instid1(VALU_DEP_3)
	v_add_f32_e32 v35, v35, v33
	v_dual_add_f32 v32, v38, v37 :: v_dual_and_b32 v39, 0xffff, v90
	s_delay_alu instid0(VALU_DEP_3) | instskip(NEXT) | instid1(VALU_DEP_3)
	v_add_f32_e32 v40, v44, v41
	v_dual_add_f32 v34, v77, v34 :: v_dual_add_f32 v35, v78, v35
	v_add_f32_e32 v41, v55, v53
	s_delay_alu instid0(VALU_DEP_3)
	v_dual_add_f32 v33, v36, v40 :: v_dual_lshlrev_b32 v36, 3, v39
	ds_store_2addr_b64 v36, v[34:35], v[32:33] offset1:1
	ds_store_2addr_b64 v36, v[41:42], v[107:108] offset0:2 offset1:3
	ds_store_2addr_b64 v36, v[102:103], v[129:130] offset0:4 offset1:5
	;; [unrolled: 1-line block ×5, first 2 shown]
	ds_store_b64 v36, v[56:57] offset:96
.LBB0_17:
	s_wait_alu 0xfffe
	s_or_b32 exec_lo, exec_lo, s1
	v_add_nc_u32_e32 v32, 0xa00, v88
	v_add_nc_u32_e32 v36, 0x1600, v88
	;; [unrolled: 1-line block ×3, first 2 shown]
	global_wb scope:SCOPE_SE
	s_wait_dscnt 0x0
	s_barrier_signal -1
	s_barrier_wait -1
	global_inv scope:SCOPE_SE
	ds_load_2addr_b64 v[32:35], v32 offset0:44 offset1:226
	ds_load_2addr_b64 v[36:39], v36 offset0:24 offset1:206
	;; [unrolled: 1-line block ×3, first 2 shown]
	ds_load_2addr_b64 v[44:47], v88 offset1:182
	global_wb scope:SCOPE_SE
	s_wait_dscnt 0x0
	s_barrier_signal -1
	s_barrier_wait -1
	global_inv scope:SCOPE_SE
	v_mul_f32_e32 v48, v13, v33
	v_dual_mul_f32 v13, v13, v32 :: v_dual_mul_f32 v50, v62, v41
	v_mul_f32_e32 v49, v15, v37
	v_mul_f32_e32 v15, v15, v36
	;; [unrolled: 1-line block ×3, first 2 shown]
	v_dual_mul_f32 v19, v19, v38 :: v_dual_mul_f32 v54, v60, v43
	v_dual_mul_f32 v51, v62, v40 :: v_dual_mul_f32 v52, v17, v35
	v_mul_f32_e32 v17, v17, v34
	v_dual_mul_f32 v55, v60, v42 :: v_dual_fmac_f32 v50, v61, v40
	v_dual_fmac_f32 v48, v12, v32 :: v_dual_fmac_f32 v53, v18, v38
	v_fma_f32 v12, v12, v33, -v13
	v_dual_fmac_f32 v49, v14, v36 :: v_dual_fmac_f32 v52, v16, v34
	v_fma_f32 v13, v14, v37, -v15
	v_fma_f32 v15, v18, v39, -v19
	;; [unrolled: 1-line block ×4, first 2 shown]
	v_sub_f32_e32 v32, v44, v49
	v_fma_f32 v16, v59, v43, -v55
	v_sub_f32_e32 v39, v47, v15
	v_dual_sub_f32 v33, v48, v50 :: v_dual_sub_f32 v36, v45, v13
	v_fmac_f32_e32 v54, v59, v42
	v_dual_sub_f32 v13, v12, v14 :: v_dual_sub_f32 v38, v46, v53
	s_delay_alu instid0(VALU_DEP_4)
	v_fma_f32 v42, v47, 2.0, -v39
	v_sub_f32_e32 v40, v17, v16
	v_fma_f32 v18, v44, 2.0, -v32
	v_fma_f32 v14, v48, 2.0, -v33
	;; [unrolled: 1-line block ×4, first 2 shown]
	v_add_f32_e32 v16, v32, v13
	v_fma_f32 v41, v46, 2.0, -v38
	v_fma_f32 v13, v17, 2.0, -v40
	v_sub_f32_e32 v17, v36, v33
	v_sub_f32_e32 v37, v52, v54
	v_dual_sub_f32 v14, v18, v14 :: v_dual_sub_f32 v15, v19, v12
	s_delay_alu instid0(VALU_DEP_4) | instskip(SKIP_1) | instid1(VALU_DEP_4)
	v_sub_f32_e32 v35, v42, v13
	v_fma_f32 v32, v32, 2.0, -v16
	v_fma_f32 v12, v52, 2.0, -v37
	s_delay_alu instid0(VALU_DEP_4) | instskip(SKIP_2) | instid1(VALU_DEP_4)
	v_fma_f32 v18, v18, 2.0, -v14
	v_fma_f32 v19, v19, 2.0, -v15
	;; [unrolled: 1-line block ×3, first 2 shown]
	v_sub_f32_e32 v34, v41, v12
	v_dual_add_f32 v12, v38, v40 :: v_dual_sub_f32 v13, v39, v37
	v_fma_f32 v37, v42, 2.0, -v35
	s_delay_alu instid0(VALU_DEP_3) | instskip(NEXT) | instid1(VALU_DEP_3)
	v_fma_f32 v36, v41, 2.0, -v34
	v_fma_f32 v38, v38, 2.0, -v12
	s_delay_alu instid0(VALU_DEP_4)
	v_fma_f32 v39, v39, 2.0, -v13
	ds_store_2addr_b64 v93, v[18:19], v[32:33] offset1:13
	ds_store_2addr_b64 v93, v[14:15], v[16:17] offset0:26 offset1:39
	ds_store_2addr_b64 v92, v[36:37], v[38:39] offset1:13
	ds_store_2addr_b64 v92, v[34:35], v[12:13] offset0:26 offset1:39
	v_add_nc_u32_e32 v14, 0xc00, v88
	v_add_nc_u32_e32 v15, 0x1a00, v88
	global_wb scope:SCOPE_SE
	s_wait_dscnt 0x0
	s_barrier_signal -1
	s_barrier_wait -1
	global_inv scope:SCOPE_SE
	ds_load_2addr_b64 v[16:19], v88 offset1:208
	ds_load_2addr_b64 v[36:39], v14 offset0:32 offset1:240
	ds_load_2addr_b64 v[32:35], v15 offset1:208
	ds_load_b64 v[40:41], v88 offset:9984
	s_and_saveexec_b32 s1, s0
	s_cbranch_execz .LBB0_19
; %bb.18:
	v_add_nc_u32_e32 v12, 0x1200, v88
	ds_load_2addr_b64 v[42:45], v12 offset0:22 offset1:230
	v_add_nc_u32_e32 v13, 0x1f00, v88
	v_add_nc_u32_e32 v12, 0x500, v88
	s_wait_dscnt 0x0
	v_mov_b32_e32 v80, v45
	ds_load_2addr_b64 v[54:57], v13 offset0:22 offset1:230
	ds_load_2addr_b64 v[12:15], v12 offset0:22 offset1:230
	ds_load_b64 v[75:76], v88 offset:11440
	v_dual_mov_b32 v79, v44 :: v_dual_mov_b32 v84, v43
	v_mov_b32_e32 v83, v42
	s_wait_dscnt 0x2
	v_mov_b32_e32 v81, v54
	s_wait_dscnt 0x1
	v_dual_mov_b32 v85, v14 :: v_dual_mov_b32 v82, v55
	v_mov_b32_e32 v86, v15
.LBB0_19:
	s_wait_alu 0xfffe
	s_or_b32 exec_lo, exec_lo, s1
	s_wait_dscnt 0x3
	v_mul_f32_e32 v14, v29, v19
	v_mul_f32_e32 v15, v29, v18
	s_wait_dscnt 0x2
	v_mul_f32_e32 v29, v31, v37
	v_mul_f32_e32 v31, v31, v36
	global_wb scope:SCOPE_SE
	s_wait_dscnt 0x0
	v_fmac_f32_e32 v14, v28, v18
	v_fma_f32 v15, v28, v19, -v15
	v_mul_f32_e32 v18, v21, v39
	v_mul_f32_e32 v19, v21, v38
	;; [unrolled: 1-line block ×3, first 2 shown]
	v_fmac_f32_e32 v29, v30, v36
	v_fma_f32 v28, v30, v37, -v31
	v_fmac_f32_e32 v18, v20, v38
	v_fma_f32 v19, v20, v39, -v19
	v_dual_fmac_f32 v21, v22, v32 :: v_dual_mul_f32 v30, v25, v35
	v_mul_f32_e32 v20, v27, v41
	v_mul_f32_e32 v27, v27, v40
	s_barrier_signal -1
	s_barrier_wait -1
	v_dual_fmac_f32 v30, v24, v34 :: v_dual_mul_f32 v23, v23, v32
	v_dual_fmac_f32 v20, v26, v40 :: v_dual_mul_f32 v25, v25, v34
	v_fma_f32 v26, v26, v41, -v27
	s_delay_alu instid0(VALU_DEP_3) | instskip(NEXT) | instid1(VALU_DEP_4)
	v_sub_f32_e32 v27, v29, v30
	v_fma_f32 v22, v22, v33, -v23
	global_inv scope:SCOPE_SE
	v_fma_f32 v23, v24, v35, -v25
	v_dual_add_f32 v24, v14, v20 :: v_dual_add_f32 v25, v15, v26
	v_dual_sub_f32 v14, v14, v20 :: v_dual_sub_f32 v15, v15, v26
	s_delay_alu instid0(VALU_DEP_3) | instskip(SKIP_4) | instid1(VALU_DEP_4)
	v_add_f32_e32 v26, v28, v23
	v_dual_add_f32 v20, v29, v30 :: v_dual_sub_f32 v23, v28, v23
	v_add_f32_e32 v28, v18, v21
	v_sub_f32_e32 v18, v21, v18
	v_add_f32_e32 v29, v19, v22
	v_dual_sub_f32 v19, v22, v19 :: v_dual_sub_f32 v30, v20, v24
	v_dual_add_f32 v21, v20, v24 :: v_dual_add_f32 v22, v26, v25
	v_dual_sub_f32 v31, v26, v25 :: v_dual_sub_f32 v24, v24, v28
	s_delay_alu instid0(VALU_DEP_4)
	v_sub_f32_e32 v26, v29, v26
	v_add_f32_e32 v32, v18, v27
	v_add_f32_e32 v33, v19, v23
	v_dual_sub_f32 v34, v18, v27 :: v_dual_add_f32 v21, v28, v21
	v_dual_sub_f32 v35, v19, v23 :: v_dual_add_f32 v22, v29, v22
	v_dual_sub_f32 v25, v25, v29 :: v_dual_sub_f32 v20, v28, v20
	v_sub_f32_e32 v18, v14, v18
	v_sub_f32_e32 v27, v27, v14
	v_dual_sub_f32 v19, v15, v19 :: v_dual_add_f32 v28, v32, v14
	v_dual_sub_f32 v23, v23, v15 :: v_dual_add_f32 v14, v16, v21
	v_dual_add_f32 v29, v33, v15 :: v_dual_mul_f32 v16, 0x3f4a47b2, v24
	v_dual_add_f32 v15, v17, v22 :: v_dual_mul_f32 v24, 0x3d64c772, v20
	v_dual_mul_f32 v32, 0x3f08b237, v34 :: v_dual_mul_f32 v33, 0x3f08b237, v35
	s_delay_alu instid0(VALU_DEP_2)
	v_dual_fmamk_f32 v21, v21, 0xbf955555, v14 :: v_dual_fmamk_f32 v22, v22, 0xbf955555, v15
	v_mul_f32_e32 v34, 0xbf5ff5aa, v27
	v_fmamk_f32 v20, v20, 0x3d64c772, v16
	v_mul_f32_e32 v35, 0xbf5ff5aa, v23
	v_fma_f32 v24, 0x3f3bfb3b, v30, -v24
	v_fma_f32 v16, 0xbf3bfb3b, v30, -v16
	v_fmamk_f32 v30, v18, 0xbeae86e6, v32
	v_fma_f32 v27, 0xbf5ff5aa, v27, -v32
	v_fma_f32 v32, 0x3eae86e6, v18, -v34
	v_add_f32_e32 v34, v20, v21
	v_mul_f32_e32 v17, 0x3f4a47b2, v25
	v_mul_f32_e32 v25, 0x3d64c772, v26
	v_fma_f32 v23, 0xbf5ff5aa, v23, -v33
	v_dual_add_f32 v24, v24, v21 :: v_dual_fmac_f32 v27, 0xbee1c552, v28
	s_delay_alu instid0(VALU_DEP_4) | instskip(NEXT) | instid1(VALU_DEP_4)
	v_fmamk_f32 v26, v26, 0x3d64c772, v17
	v_fma_f32 v25, 0x3f3bfb3b, v31, -v25
	v_fma_f32 v17, 0xbf3bfb3b, v31, -v17
	v_fmamk_f32 v31, v19, 0xbeae86e6, v33
	v_fma_f32 v33, 0x3eae86e6, v19, -v35
	v_dual_add_f32 v35, v26, v22 :: v_dual_fmac_f32 v30, 0xbee1c552, v28
	s_delay_alu instid0(VALU_DEP_3) | instskip(SKIP_1) | instid1(VALU_DEP_4)
	v_dual_add_f32 v36, v17, v22 :: v_dual_fmac_f32 v31, 0xbee1c552, v29
	v_add_f32_e32 v25, v25, v22
	v_fmac_f32_e32 v33, 0xbee1c552, v29
	s_delay_alu instid0(VALU_DEP_4) | instskip(SKIP_2) | instid1(VALU_DEP_3)
	v_dual_add_f32 v26, v16, v21 :: v_dual_sub_f32 v17, v35, v30
	v_dual_fmac_f32 v32, 0xbee1c552, v28 :: v_dual_fmac_f32 v23, 0xbee1c552, v29
	v_add_f32_e32 v16, v31, v34
	v_dual_add_f32 v18, v33, v26 :: v_dual_add_f32 v21, v27, v25
	s_delay_alu instid0(VALU_DEP_3) | instskip(NEXT) | instid1(VALU_DEP_4)
	v_sub_f32_e32 v19, v36, v32
	v_sub_f32_e32 v20, v24, v23
	v_dual_add_f32 v22, v23, v24 :: v_dual_sub_f32 v23, v25, v27
	v_dual_sub_f32 v24, v26, v33 :: v_dual_add_f32 v25, v32, v36
	v_dual_add_f32 v27, v30, v35 :: v_dual_add_nc_u32 v28, 0x400, v94
	v_sub_f32_e32 v26, v34, v31
	ds_store_2addr_b64 v94, v[14:15], v[16:17] offset1:52
	ds_store_2addr_b64 v94, v[18:19], v[20:21] offset0:104 offset1:156
	ds_store_2addr_b64 v28, v[22:23], v[24:25] offset0:80 offset1:132
	ds_store_b64 v94, v[26:27] offset:2496
	s_and_saveexec_b32 s1, s0
	s_cbranch_execz .LBB0_21
; %bb.20:
	v_dual_mul_f32 v14, v5, v86 :: v_dual_mul_f32 v17, v7, v84
	v_dual_mul_f32 v15, v3, v82 :: v_dual_mul_f32 v16, v1, v80
	v_dual_mul_f32 v18, v9, v57 :: v_dual_mul_f32 v19, v11, v76
	s_delay_alu instid0(VALU_DEP_3) | instskip(NEXT) | instid1(VALU_DEP_3)
	v_fmac_f32_e32 v17, v6, v83
	v_dual_fmac_f32 v15, v2, v81 :: v_dual_fmac_f32 v16, v0, v79
	s_delay_alu instid0(VALU_DEP_3) | instskip(NEXT) | instid1(VALU_DEP_4)
	v_fmac_f32_e32 v18, v8, v56
	v_dual_fmac_f32 v14, v4, v85 :: v_dual_fmac_f32 v19, v10, v75
	s_delay_alu instid0(VALU_DEP_3) | instskip(NEXT) | instid1(VALU_DEP_3)
	v_dual_mul_f32 v1, v1, v79 :: v_dual_sub_f32 v20, v15, v16
	v_sub_f32_e32 v21, v17, v18
	s_delay_alu instid0(VALU_DEP_3) | instskip(NEXT) | instid1(VALU_DEP_3)
	v_dual_mul_f32 v3, v3, v81 :: v_dual_sub_f32 v22, v14, v19
	v_fma_f32 v0, v0, v80, -v1
	v_dual_mul_f32 v9, v9, v56 :: v_dual_add_f32 v14, v19, v14
	s_delay_alu instid0(VALU_DEP_4) | instskip(NEXT) | instid1(VALU_DEP_4)
	v_sub_f32_e32 v23, v20, v21
	v_fma_f32 v2, v2, v82, -v3
	v_add_f32_e32 v15, v16, v15
	v_add_f32_e32 v17, v18, v17
	s_delay_alu instid0(VALU_DEP_3) | instskip(SKIP_3) | instid1(VALU_DEP_2)
	v_add_f32_e32 v1, v0, v2
	v_mul_f32_e32 v23, 0x3f08b237, v23
	v_mul_f32_e32 v5, v5, v85
	v_dual_mul_f32 v7, v7, v83 :: v_dual_sub_f32 v2, v2, v0
	v_fma_f32 v4, v4, v86, -v5
	v_mul_f32_e32 v11, v11, v75
	v_fma_f32 v5, v8, v57, -v9
	s_delay_alu instid0(VALU_DEP_4) | instskip(SKIP_1) | instid1(VALU_DEP_4)
	v_fma_f32 v6, v6, v84, -v7
	v_add_f32_e32 v7, v20, v21
	v_fma_f32 v10, v10, v76, -v11
	s_delay_alu instid0(VALU_DEP_3) | instskip(SKIP_1) | instid1(VALU_DEP_3)
	v_add_f32_e32 v9, v5, v6
	v_sub_f32_e32 v5, v6, v5
	v_dual_sub_f32 v21, v21, v22 :: v_dual_add_f32 v8, v10, v4
	v_sub_f32_e32 v4, v4, v10
	s_delay_alu instid0(VALU_DEP_3) | instskip(SKIP_1) | instid1(VALU_DEP_4)
	v_sub_f32_e32 v10, v2, v5
	v_sub_f32_e32 v18, v1, v9
	v_dual_add_f32 v3, v9, v8 :: v_dual_sub_f32 v24, v8, v1
	v_sub_f32_e32 v8, v9, v8
	s_delay_alu instid0(VALU_DEP_4) | instskip(NEXT) | instid1(VALU_DEP_4)
	v_mul_f32_e32 v10, 0x3f08b237, v10
	v_mul_f32_e32 v16, 0x3d64c772, v18
	s_delay_alu instid0(VALU_DEP_4) | instskip(NEXT) | instid1(VALU_DEP_1)
	v_dual_mul_f32 v19, 0x3f4a47b2, v24 :: v_dual_sub_f32 v24, v14, v15
	v_dual_add_f32 v7, v7, v22 :: v_dual_mul_f32 v6, 0x3f4a47b2, v24
	v_sub_f32_e32 v24, v4, v2
	s_delay_alu instid0(VALU_DEP_3) | instskip(SKIP_2) | instid1(VALU_DEP_4)
	v_dual_fmamk_f32 v18, v18, 0x3d64c772, v19 :: v_dual_add_f32 v3, v1, v3
	v_sub_f32_e32 v11, v22, v20
	v_add_f32_e32 v2, v2, v5
	v_fmamk_f32 v22, v24, 0xbeae86e6, v10
	s_delay_alu instid0(VALU_DEP_4) | instskip(NEXT) | instid1(VALU_DEP_4)
	v_dual_mul_f32 v26, 0xbf5ff5aa, v21 :: v_dual_add_f32 v1, v13, v3
	v_dual_add_f32 v13, v17, v14 :: v_dual_fmamk_f32 v20, v11, 0xbeae86e6, v23
	s_delay_alu instid0(VALU_DEP_2) | instskip(NEXT) | instid1(VALU_DEP_2)
	v_dual_add_f32 v2, v2, v4 :: v_dual_fmamk_f32 v25, v3, 0xbf955555, v1
	v_dual_add_f32 v3, v15, v13 :: v_dual_fmac_f32 v20, 0xbee1c552, v7
	s_delay_alu instid0(VALU_DEP_2) | instskip(SKIP_1) | instid1(VALU_DEP_3)
	v_fmac_f32_e32 v22, 0xbee1c552, v2
	v_fma_f32 v11, 0x3eae86e6, v11, -v26
	v_add_f32_e32 v0, v12, v3
	v_dual_add_f32 v12, v18, v25 :: v_dual_sub_f32 v9, v17, v14
	v_sub_f32_e32 v14, v5, v4
	v_fma_f32 v5, 0xbf3bfb3b, v8, -v19
	s_delay_alu instid0(VALU_DEP_4)
	v_fmamk_f32 v18, v3, 0xbf955555, v0
	v_sub_f32_e32 v13, v15, v17
	v_add_f32_e32 v3, v20, v12
	v_mul_f32_e32 v17, 0xbf5ff5aa, v14
	v_add_f32_e32 v19, v5, v25
	v_fma_f32 v4, 0x3f3bfb3b, v8, -v16
	v_fmamk_f32 v15, v13, 0x3d64c772, v6
	v_mul_f32_e32 v13, 0x3d64c772, v13
	v_fma_f32 v6, 0xbf3bfb3b, v9, -v6
	v_fma_f32 v17, 0x3eae86e6, v24, -v17
	;; [unrolled: 1-line block ×4, first 2 shown]
	v_lshlrev_b32_e32 v14, 3, v91
	v_fma_f32 v5, 0x3f3bfb3b, v9, -v13
	v_dual_fmac_f32 v11, 0xbee1c552, v7 :: v_dual_add_f32 v26, v6, v18
	s_delay_alu instid0(VALU_DEP_4)
	v_fmac_f32_e32 v10, 0xbee1c552, v2
	v_fmac_f32_e32 v17, 0xbee1c552, v2
	v_dual_add_f32 v15, v15, v18 :: v_dual_fmac_f32 v8, 0xbee1c552, v7
	v_add_f32_e32 v13, v5, v18
	v_add_f32_e32 v9, v4, v25
	v_dual_add_f32 v5, v11, v19 :: v_dual_add_nc_u32 v16, 0x2000, v14
	v_sub_f32_e32 v4, v26, v17
	s_delay_alu instid0(VALU_DEP_3)
	v_dual_add_f32 v6, v10, v13 :: v_dual_sub_f32 v7, v9, v8
	v_dual_sub_f32 v2, v15, v22 :: v_dual_add_f32 v9, v8, v9
	v_sub_f32_e32 v8, v13, v10
	v_dual_add_f32 v10, v17, v26 :: v_dual_sub_f32 v13, v12, v20
	v_add_f32_e32 v12, v22, v15
	v_sub_f32_e32 v11, v19, v11
	v_add_nc_u32_e32 v17, 0x2800, v14
	ds_store_2addr_b64 v16, v[0:1], v[12:13] offset0:68 offset1:120
	ds_store_2addr_b64 v16, v[10:11], v[8:9] offset0:172 offset1:224
	;; [unrolled: 1-line block ×3, first 2 shown]
	ds_store_b64 v14, v[2:3] offset:11232
.LBB0_21:
	s_wait_alu 0xfffe
	s_or_b32 exec_lo, exec_lo, s1
	v_add_nc_u32_e32 v18, 0x1600, v88
	v_add_nc_u32_e32 v19, 0x2000, v88
	global_wb scope:SCOPE_SE
	s_wait_dscnt 0x0
	s_barrier_signal -1
	s_barrier_wait -1
	global_inv scope:SCOPE_SE
	ds_load_2addr_b64 v[0:3], v18 offset0:24 offset1:206
	ds_load_2addr_b64 v[4:7], v19 offset0:68 offset1:250
	v_add_nc_u32_e32 v20, 0xa00, v88
	s_wait_dscnt 0x1
	v_mul_f32_e32 v16, v64, v1
	s_wait_dscnt 0x0
	v_mul_f32_e32 v23, v64, v5
	ds_load_2addr_b64 v[8:11], v88 offset1:182
	ds_load_2addr_b64 v[12:15], v20 offset0:44 offset1:226
	v_dual_mul_f32 v17, v64, v0 :: v_dual_mul_f32 v22, v66, v2
	v_dual_mul_f32 v21, v66, v3 :: v_dual_mul_f32 v24, v64, v4
	v_mul_f32_e32 v25, v66, v7
	v_dual_mul_f32 v26, v66, v6 :: v_dual_fmac_f32 v23, v63, v4
	s_delay_alu instid0(VALU_DEP_3)
	v_dual_fmac_f32 v16, v63, v0 :: v_dual_fmac_f32 v21, v65, v2
	v_fma_f32 v1, v63, v1, -v17
	v_fma_f32 v3, v65, v3, -v22
	;; [unrolled: 1-line block ×3, first 2 shown]
	v_fmac_f32_e32 v25, v65, v6
	v_fma_f32 v7, v65, v7, -v26
	global_wb scope:SCOPE_SE
	s_wait_dscnt 0x0
	s_barrier_signal -1
	s_barrier_wait -1
	global_inv scope:SCOPE_SE
	v_dual_sub_f32 v0, v8, v16 :: v_dual_sub_f32 v1, v9, v1
	v_sub_f32_e32 v4, v12, v23
	v_dual_sub_f32 v2, v10, v21 :: v_dual_sub_f32 v3, v11, v3
	v_sub_f32_e32 v5, v13, v5
	v_dual_sub_f32 v6, v14, v25 :: v_dual_sub_f32 v7, v15, v7
	v_fma_f32 v8, v8, 2.0, -v0
	v_fma_f32 v9, v9, 2.0, -v1
	;; [unrolled: 1-line block ×8, first 2 shown]
	ds_store_2addr_b64 v88, v[8:9], v[10:11] offset1:182
	ds_store_2addr_b64 v20, v[0:1], v[2:3] offset0:44 offset1:226
	ds_store_2addr_b64 v18, v[12:13], v[14:15] offset0:24 offset1:206
	;; [unrolled: 1-line block ×3, first 2 shown]
	global_wb scope:SCOPE_SE
	s_wait_dscnt 0x0
	s_barrier_signal -1
	s_barrier_wait -1
	global_inv scope:SCOPE_SE
	ds_load_2addr_b64 v[0:3], v18 offset0:24 offset1:206
	ds_load_2addr_b64 v[4:7], v19 offset0:68 offset1:250
	ds_load_2addr_b64 v[8:11], v88 offset1:182
	ds_load_2addr_b64 v[12:15], v20 offset0:44 offset1:226
	s_wait_dscnt 0x3
	v_dual_mul_f32 v16, v68, v1 :: v_dual_mul_f32 v21, v70, v3
	s_wait_dscnt 0x2
	v_dual_mul_f32 v24, v74, v4 :: v_dual_mul_f32 v25, v72, v7
	v_mul_f32_e32 v22, v70, v2
	s_delay_alu instid0(VALU_DEP_3) | instskip(SKIP_3) | instid1(VALU_DEP_3)
	v_dual_fmac_f32 v16, v67, v0 :: v_dual_fmac_f32 v21, v69, v2
	v_mul_f32_e32 v17, v68, v0
	v_dual_mul_f32 v23, v74, v5 :: v_dual_mul_f32 v26, v72, v6
	s_wait_dscnt 0x1
	v_dual_fmac_f32 v25, v71, v6 :: v_dual_sub_f32 v0, v8, v16
	v_sub_f32_e32 v2, v10, v21
	v_fma_f32 v1, v67, v1, -v17
	v_fma_f32 v3, v69, v3, -v22
	s_wait_dscnt 0x0
	v_dual_fmac_f32 v23, v73, v4 :: v_dual_sub_f32 v16, v14, v25
	v_fma_f32 v17, v73, v5, -v24
	v_sub_f32_e32 v1, v9, v1
	v_fma_f32 v7, v71, v7, -v26
	v_sub_f32_e32 v3, v11, v3
	v_fma_f32 v4, v8, 2.0, -v0
	v_sub_f32_e32 v8, v12, v23
	v_fma_f32 v5, v9, 2.0, -v1
	v_sub_f32_e32 v9, v13, v17
	v_sub_f32_e32 v17, v15, v7
	v_fma_f32 v6, v10, 2.0, -v2
	v_fma_f32 v7, v11, 2.0, -v3
	v_fma_f32 v10, v12, 2.0, -v8
	v_fma_f32 v11, v13, 2.0, -v9
	v_fma_f32 v12, v14, 2.0, -v16
	v_fma_f32 v13, v15, 2.0, -v17
	ds_store_2addr_b64 v88, v[4:5], v[6:7] offset1:182
	ds_store_2addr_b64 v18, v[0:1], v[2:3] offset0:24 offset1:206
	ds_store_2addr_b64 v20, v[10:11], v[12:13] offset0:44 offset1:226
	;; [unrolled: 1-line block ×3, first 2 shown]
	global_wb scope:SCOPE_SE
	s_wait_dscnt 0x0
	s_barrier_signal -1
	s_barrier_wait -1
	global_inv scope:SCOPE_SE
	s_and_b32 exec_lo, exec_lo, vcc_lo
	s_cbranch_execz .LBB0_23
; %bb.22:
	s_clause 0xc
	global_load_b64 v[24:25], v88, s[12:13]
	global_load_b64 v[26:27], v88, s[12:13] offset:896
	global_load_b64 v[28:29], v88, s[12:13] offset:1792
	;; [unrolled: 1-line block ×12, first 2 shown]
	v_mad_co_u64_u32 v[4:5], null, s6, v58, 0
	v_mad_co_u64_u32 v[6:7], null, s4, v89, 0
	ds_load_b64 v[50:51], v88
	v_add_nc_u32_e32 v9, 0x1000, v88
	v_add_nc_u32_e32 v12, 0x1800, v88
	s_mul_u64 s[0:1], s[4:5], 0x380
	v_mov_b32_e32 v0, v5
	s_mov_b32 s2, 0x16816817
	v_mov_b32_e32 v1, v7
	s_mov_b32 s3, 0x3f468168
	s_delay_alu instid0(VALU_DEP_1) | instskip(NEXT) | instid1(VALU_DEP_1)
	v_mad_co_u64_u32 v[2:3], null, s7, v58, v[0:1]
	v_mad_co_u64_u32 v[7:8], null, s5, v89, v[1:2]
	v_dual_mov_b32 v5, v2 :: v_dual_add_nc_u32 v8, 0x800, v88
	ds_load_2addr_b64 v[0:3], v88 offset0:112 offset1:224
	v_add_nc_u32_e32 v16, 0x1c00, v88
	v_add_nc_u32_e32 v20, 0x2400, v88
	v_lshlrev_b64_e32 v[4:5], 3, v[4:5]
	v_lshlrev_b64_e32 v[6:7], 3, v[6:7]
	s_delay_alu instid0(VALU_DEP_2) | instskip(NEXT) | instid1(VALU_DEP_3)
	v_add_co_u32 v74, vcc_lo, s8, v4
	v_add_co_ci_u32_e32 v75, vcc_lo, s9, v5, vcc_lo
	s_delay_alu instid0(VALU_DEP_2) | instskip(SKIP_1) | instid1(VALU_DEP_2)
	v_add_co_u32 v52, vcc_lo, v74, v6
	s_wait_alu 0xfffd
	v_add_co_ci_u32_e32 v53, vcc_lo, v75, v7, vcc_lo
	ds_load_2addr_b64 v[4:7], v8 offset0:80 offset1:192
	s_wait_alu 0xfffe
	v_add_co_u32 v54, vcc_lo, v52, s0
	s_wait_alu 0xfffd
	v_add_co_ci_u32_e32 v55, vcc_lo, s1, v53, vcc_lo
	s_delay_alu instid0(VALU_DEP_2) | instskip(SKIP_1) | instid1(VALU_DEP_2)
	v_add_co_u32 v56, vcc_lo, v54, s0
	s_wait_alu 0xfffd
	v_add_co_ci_u32_e32 v57, vcc_lo, s1, v55, vcc_lo
	s_delay_alu instid0(VALU_DEP_2) | instskip(SKIP_1) | instid1(VALU_DEP_2)
	;; [unrolled: 4-line block ×4, first 2 shown]
	v_add_co_u32 v62, vcc_lo, v60, s0
	s_wait_alu 0xfffd
	v_add_co_ci_u32_e32 v63, vcc_lo, s1, v61, vcc_lo
	s_wait_loadcnt_dscnt 0xc02
	v_mul_f32_e32 v64, v51, v25
	ds_load_2addr_b64 v[8:11], v9 offset0:48 offset1:160
	s_wait_loadcnt_dscnt 0xb02
	v_mul_f32_e32 v65, v1, v27
	v_mul_f32_e32 v27, v0, v27
	ds_load_2addr_b64 v[16:19], v16 offset0:112 offset1:224
	v_mul_f32_e32 v25, v50, v25
	ds_load_2addr_b64 v[12:15], v12 offset0:16 offset1:128
	ds_load_2addr_b64 v[20:23], v20 offset0:80 offset1:192
	s_wait_loadcnt_dscnt 0x904
	v_dual_mul_f32 v66, v3, v29 :: v_dual_mul_f32 v67, v5, v31
	v_mul_f32_e32 v29, v2, v29
	s_wait_loadcnt 0x8
	v_dual_mul_f32 v31, v4, v31 :: v_dual_mul_f32 v68, v7, v33
	v_mul_f32_e32 v33, v6, v33
	v_fmac_f32_e32 v64, v50, v24
	v_fma_f32 v24, v24, v51, -v25
	v_fma_f32 v25, v26, v1, -v27
	v_fmac_f32_e32 v66, v2, v28
	v_fma_f32 v27, v30, v5, -v31
	s_wait_loadcnt_dscnt 0x703
	v_dual_fmac_f32 v68, v6, v32 :: v_dual_mul_f32 v69, v9, v35
	s_wait_loadcnt 0x6
	v_dual_mul_f32 v70, v11, v37 :: v_dual_mul_f32 v35, v8, v35
	s_wait_loadcnt_dscnt 0x302
	v_mul_f32_e32 v73, v17, v43
	v_mul_f32_e32 v37, v10, v37
	s_wait_dscnt 0x1
	v_dual_mul_f32 v72, v15, v41 :: v_dual_fmac_f32 v65, v0, v26
	s_wait_loadcnt 0x2
	v_dual_mul_f32 v71, v13, v39 :: v_dual_mul_f32 v76, v19, v45
	s_wait_loadcnt_dscnt 0x0
	v_dual_mul_f32 v39, v12, v39 :: v_dual_mul_f32 v78, v23, v49
	v_mul_f32_e32 v43, v16, v43
	v_fma_f32 v26, v28, v3, -v29
	v_mul_f32_e32 v41, v14, v41
	v_dual_fmac_f32 v67, v4, v30 :: v_dual_fmac_f32 v76, v18, v44
	v_mul_f32_e32 v45, v18, v45
	v_mul_f32_e32 v77, v21, v47
	v_fma_f32 v28, v32, v7, -v33
	v_dual_mul_f32 v47, v20, v47 :: v_dual_fmac_f32 v70, v10, v36
	v_mul_f32_e32 v49, v22, v49
	v_dual_fmac_f32 v69, v8, v34 :: v_dual_fmac_f32 v78, v22, v48
	v_fma_f32 v29, v34, v9, -v35
	v_cvt_f64_f32_e32 v[0:1], v64
	v_cvt_f64_f32_e32 v[2:3], v24
	v_fma_f32 v30, v36, v11, -v37
	v_fmac_f32_e32 v72, v14, v40
	v_cvt_f64_f32_e32 v[4:5], v65
	v_cvt_f64_f32_e32 v[6:7], v25
	v_fmac_f32_e32 v71, v12, v38
	v_fma_f32 v31, v38, v13, -v39
	v_cvt_f64_f32_e32 v[8:9], v66
	v_cvt_f64_f32_e32 v[10:11], v26
	v_fma_f32 v34, v40, v15, -v41
	v_cvt_f64_f32_e32 v[12:13], v67
	v_cvt_f64_f32_e32 v[14:15], v27
	v_fmac_f32_e32 v73, v16, v42
	v_fma_f32 v38, v42, v17, -v43
	v_fma_f32 v42, v44, v19, -v45
	v_cvt_f64_f32_e32 v[16:17], v68
	v_cvt_f64_f32_e32 v[18:19], v28
	v_fmac_f32_e32 v77, v20, v46
	v_fma_f32 v46, v46, v21, -v47
	v_fma_f32 v50, v48, v23, -v49
	v_cvt_f64_f32_e32 v[20:21], v69
	v_cvt_f64_f32_e32 v[22:23], v29
	;; [unrolled: 1-line block ×16, first 2 shown]
	v_add_co_u32 v64, vcc_lo, v62, s0
	v_mul_f64_e32 v[0:1], s[2:3], v[0:1]
	v_mul_f64_e32 v[2:3], s[2:3], v[2:3]
	s_wait_alu 0xfffd
	v_add_co_ci_u32_e32 v65, vcc_lo, s1, v63, vcc_lo
	v_mul_f64_e32 v[4:5], s[2:3], v[4:5]
	v_mul_f64_e32 v[6:7], s[2:3], v[6:7]
	v_add_co_u32 v66, vcc_lo, v64, s0
	v_mul_f64_e32 v[8:9], s[2:3], v[8:9]
	v_mul_f64_e32 v[10:11], s[2:3], v[10:11]
	;; [unrolled: 1-line block ×4, first 2 shown]
	s_wait_alu 0xfffd
	v_add_co_ci_u32_e32 v67, vcc_lo, s1, v65, vcc_lo
	v_mad_co_u64_u32 v[70:71], null, s4, v87, 0
	v_mul_f64_e32 v[16:17], s[2:3], v[16:17]
	v_mul_f64_e32 v[18:19], s[2:3], v[18:19]
	s_delay_alu instid0(VALU_DEP_4)
	v_mad_co_u64_u32 v[68:69], null, 0x700, s4, v[66:67]
	v_mul_f64_e32 v[20:21], s[2:3], v[20:21]
	v_mul_f64_e32 v[22:23], s[2:3], v[22:23]
	;; [unrolled: 1-line block ×16, first 2 shown]
	v_mad_co_u64_u32 v[72:73], null, 0x700, s5, v[69:70]
	v_cvt_f32_f64_e32 v0, v[0:1]
	v_cvt_f32_f64_e32 v1, v[2:3]
	;; [unrolled: 1-line block ×4, first 2 shown]
	v_mov_b32_e32 v69, v72
	v_cvt_f32_f64_e32 v4, v[8:9]
	v_cvt_f32_f64_e32 v5, v[10:11]
	;; [unrolled: 1-line block ×22, first 2 shown]
	v_mad_co_u64_u32 v[26:27], null, s5, v87, v[71:72]
	s_delay_alu instid0(VALU_DEP_1) | instskip(SKIP_3) | instid1(VALU_DEP_3)
	v_mov_b32_e32 v71, v26
	v_add_co_u32 v26, vcc_lo, v68, s0
	s_wait_alu 0xfffd
	v_add_co_ci_u32_e32 v27, vcc_lo, s1, v69, vcc_lo
	v_lshlrev_b64_e32 v[28:29], 3, v[70:71]
	s_delay_alu instid0(VALU_DEP_3) | instskip(SKIP_1) | instid1(VALU_DEP_3)
	v_add_co_u32 v30, vcc_lo, v26, s0
	s_wait_alu 0xfffd
	v_add_co_ci_u32_e32 v31, vcc_lo, s1, v27, vcc_lo
	s_delay_alu instid0(VALU_DEP_3)
	v_add_co_u32 v28, vcc_lo, v74, v28
	s_wait_alu 0xfffd
	v_add_co_ci_u32_e32 v29, vcc_lo, v75, v29, vcc_lo
	v_add_co_u32 v32, vcc_lo, v30, s0
	s_wait_alu 0xfffd
	v_add_co_ci_u32_e32 v33, vcc_lo, s1, v31, vcc_lo
	s_clause 0x4
	global_store_b64 v[52:53], v[0:1], off
	global_store_b64 v[54:55], v[2:3], off
	;; [unrolled: 1-line block ×13, first 2 shown]
.LBB0_23:
	s_nop 0
	s_sendmsg sendmsg(MSG_DEALLOC_VGPRS)
	s_endpgm
	.section	.rodata,"a",@progbits
	.p2align	6, 0x0
	.amdhsa_kernel bluestein_single_fwd_len1456_dim1_sp_op_CI_CI
		.amdhsa_group_segment_fixed_size 11648
		.amdhsa_private_segment_fixed_size 0
		.amdhsa_kernarg_size 104
		.amdhsa_user_sgpr_count 2
		.amdhsa_user_sgpr_dispatch_ptr 0
		.amdhsa_user_sgpr_queue_ptr 0
		.amdhsa_user_sgpr_kernarg_segment_ptr 1
		.amdhsa_user_sgpr_dispatch_id 0
		.amdhsa_user_sgpr_private_segment_size 0
		.amdhsa_wavefront_size32 1
		.amdhsa_uses_dynamic_stack 0
		.amdhsa_enable_private_segment 0
		.amdhsa_system_sgpr_workgroup_id_x 1
		.amdhsa_system_sgpr_workgroup_id_y 0
		.amdhsa_system_sgpr_workgroup_id_z 0
		.amdhsa_system_sgpr_workgroup_info 0
		.amdhsa_system_vgpr_workitem_id 0
		.amdhsa_next_free_vgpr 243
		.amdhsa_next_free_sgpr 14
		.amdhsa_reserve_vcc 1
		.amdhsa_float_round_mode_32 0
		.amdhsa_float_round_mode_16_64 0
		.amdhsa_float_denorm_mode_32 3
		.amdhsa_float_denorm_mode_16_64 3
		.amdhsa_fp16_overflow 0
		.amdhsa_workgroup_processor_mode 1
		.amdhsa_memory_ordered 1
		.amdhsa_forward_progress 0
		.amdhsa_round_robin_scheduling 0
		.amdhsa_exception_fp_ieee_invalid_op 0
		.amdhsa_exception_fp_denorm_src 0
		.amdhsa_exception_fp_ieee_div_zero 0
		.amdhsa_exception_fp_ieee_overflow 0
		.amdhsa_exception_fp_ieee_underflow 0
		.amdhsa_exception_fp_ieee_inexact 0
		.amdhsa_exception_int_div_zero 0
	.end_amdhsa_kernel
	.text
.Lfunc_end0:
	.size	bluestein_single_fwd_len1456_dim1_sp_op_CI_CI, .Lfunc_end0-bluestein_single_fwd_len1456_dim1_sp_op_CI_CI
                                        ; -- End function
	.section	.AMDGPU.csdata,"",@progbits
; Kernel info:
; codeLenInByte = 16228
; NumSgprs: 16
; NumVgprs: 243
; ScratchSize: 0
; MemoryBound: 0
; FloatMode: 240
; IeeeMode: 1
; LDSByteSize: 11648 bytes/workgroup (compile time only)
; SGPRBlocks: 1
; VGPRBlocks: 30
; NumSGPRsForWavesPerEU: 16
; NumVGPRsForWavesPerEU: 243
; Occupancy: 5
; WaveLimiterHint : 1
; COMPUTE_PGM_RSRC2:SCRATCH_EN: 0
; COMPUTE_PGM_RSRC2:USER_SGPR: 2
; COMPUTE_PGM_RSRC2:TRAP_HANDLER: 0
; COMPUTE_PGM_RSRC2:TGID_X_EN: 1
; COMPUTE_PGM_RSRC2:TGID_Y_EN: 0
; COMPUTE_PGM_RSRC2:TGID_Z_EN: 0
; COMPUTE_PGM_RSRC2:TIDIG_COMP_CNT: 0
	.text
	.p2alignl 7, 3214868480
	.fill 96, 4, 3214868480
	.type	__hip_cuid_9c914e0e985c0671,@object ; @__hip_cuid_9c914e0e985c0671
	.section	.bss,"aw",@nobits
	.globl	__hip_cuid_9c914e0e985c0671
__hip_cuid_9c914e0e985c0671:
	.byte	0                               ; 0x0
	.size	__hip_cuid_9c914e0e985c0671, 1

	.ident	"AMD clang version 19.0.0git (https://github.com/RadeonOpenCompute/llvm-project roc-6.4.0 25133 c7fe45cf4b819c5991fe208aaa96edf142730f1d)"
	.section	".note.GNU-stack","",@progbits
	.addrsig
	.addrsig_sym __hip_cuid_9c914e0e985c0671
	.amdgpu_metadata
---
amdhsa.kernels:
  - .args:
      - .actual_access:  read_only
        .address_space:  global
        .offset:         0
        .size:           8
        .value_kind:     global_buffer
      - .actual_access:  read_only
        .address_space:  global
        .offset:         8
        .size:           8
        .value_kind:     global_buffer
      - .actual_access:  read_only
        .address_space:  global
        .offset:         16
        .size:           8
        .value_kind:     global_buffer
      - .actual_access:  read_only
        .address_space:  global
        .offset:         24
        .size:           8
        .value_kind:     global_buffer
      - .actual_access:  read_only
        .address_space:  global
        .offset:         32
        .size:           8
        .value_kind:     global_buffer
      - .offset:         40
        .size:           8
        .value_kind:     by_value
      - .address_space:  global
        .offset:         48
        .size:           8
        .value_kind:     global_buffer
      - .address_space:  global
        .offset:         56
        .size:           8
        .value_kind:     global_buffer
      - .address_space:  global
        .offset:         64
        .size:           8
        .value_kind:     global_buffer
      - .address_space:  global
        .offset:         72
        .size:           8
        .value_kind:     global_buffer
      - .offset:         80
        .size:           4
        .value_kind:     by_value
      - .address_space:  global
        .offset:         88
        .size:           8
        .value_kind:     global_buffer
      - .address_space:  global
        .offset:         96
        .size:           8
        .value_kind:     global_buffer
    .group_segment_fixed_size: 11648
    .kernarg_segment_align: 8
    .kernarg_segment_size: 104
    .language:       OpenCL C
    .language_version:
      - 2
      - 0
    .max_flat_workgroup_size: 182
    .name:           bluestein_single_fwd_len1456_dim1_sp_op_CI_CI
    .private_segment_fixed_size: 0
    .sgpr_count:     16
    .sgpr_spill_count: 0
    .symbol:         bluestein_single_fwd_len1456_dim1_sp_op_CI_CI.kd
    .uniform_work_group_size: 1
    .uses_dynamic_stack: false
    .vgpr_count:     243
    .vgpr_spill_count: 0
    .wavefront_size: 32
    .workgroup_processor_mode: 1
amdhsa.target:   amdgcn-amd-amdhsa--gfx1201
amdhsa.version:
  - 1
  - 2
...

	.end_amdgpu_metadata
